;; amdgpu-corpus repo=ROCm/rocFFT kind=compiled arch=gfx1201 opt=O3
	.text
	.amdgcn_target "amdgcn-amd-amdhsa--gfx1201"
	.amdhsa_code_object_version 6
	.protected	bluestein_single_fwd_len1694_dim1_sp_op_CI_CI ; -- Begin function bluestein_single_fwd_len1694_dim1_sp_op_CI_CI
	.globl	bluestein_single_fwd_len1694_dim1_sp_op_CI_CI
	.p2align	8
	.type	bluestein_single_fwd_len1694_dim1_sp_op_CI_CI,@function
bluestein_single_fwd_len1694_dim1_sp_op_CI_CI: ; @bluestein_single_fwd_len1694_dim1_sp_op_CI_CI
; %bb.0:
	s_load_b128 s[12:15], s[0:1], 0x28
	v_mul_u32_u24_e32 v1, 0x1aa, v0
	s_mov_b32 s2, exec_lo
	v_mov_b32_e32 v69, 0
	s_delay_alu instid0(VALU_DEP_2) | instskip(NEXT) | instid1(VALU_DEP_1)
	v_lshrrev_b32_e32 v1, 16, v1
	v_add_nc_u32_e32 v68, ttmp9, v1
	s_wait_kmcnt 0x0
	s_delay_alu instid0(VALU_DEP_1)
	v_cmpx_gt_u64_e64 s[12:13], v[68:69]
	s_cbranch_execz .LBB0_18
; %bb.1:
	s_clause 0x1
	s_load_b128 s[4:7], s[0:1], 0x18
	s_load_b128 s[8:11], s[0:1], 0x0
	v_mul_lo_u16 v1, 0x9a, v1
	s_delay_alu instid0(VALU_DEP_1) | instskip(NEXT) | instid1(VALU_DEP_1)
	v_sub_nc_u16 v22, v0, v1
	v_and_b32_e32 v109, 0xffff, v22
	v_mul_lo_u16 v27, v22, 11
	s_delay_alu instid0(VALU_DEP_2)
	v_lshlrev_b32_e32 v110, 3, v109
	s_wait_kmcnt 0x0
	s_load_b128 s[16:19], s[4:5], 0x0
	s_clause 0x8
	global_load_b64 v[69:70], v110, s[8:9]
	global_load_b64 v[73:74], v110, s[8:9] offset:1232
	global_load_b64 v[71:72], v110, s[8:9] offset:2464
	;; [unrolled: 1-line block ×8, first 2 shown]
	v_add_nc_u32_e32 v28, 0x800, v110
	s_wait_kmcnt 0x0
	v_mad_co_u64_u32 v[0:1], null, s18, v68, 0
	v_mad_co_u64_u32 v[2:3], null, s16, v109, 0
	s_mul_u64 s[2:3], s[16:17], 0x4d0
	s_delay_alu instid0(VALU_DEP_1) | instskip(NEXT) | instid1(VALU_DEP_1)
	v_mad_co_u64_u32 v[4:5], null, s19, v68, v[1:2]
	v_mad_co_u64_u32 v[5:6], null, s17, v109, v[3:4]
	v_mov_b32_e32 v1, v4
	s_delay_alu instid0(VALU_DEP_1) | instskip(NEXT) | instid1(VALU_DEP_3)
	v_lshlrev_b64_e32 v[0:1], 3, v[0:1]
	v_mov_b32_e32 v3, v5
	s_delay_alu instid0(VALU_DEP_2) | instskip(NEXT) | instid1(VALU_DEP_2)
	v_add_co_u32 v0, vcc_lo, s14, v0
	v_lshlrev_b64_e32 v[2:3], 3, v[2:3]
	s_delay_alu instid0(VALU_DEP_4) | instskip(NEXT) | instid1(VALU_DEP_2)
	v_add_co_ci_u32_e32 v1, vcc_lo, s15, v1, vcc_lo
	v_add_co_u32 v0, vcc_lo, v0, v2
	s_wait_alu 0xfffd
	s_delay_alu instid0(VALU_DEP_2) | instskip(NEXT) | instid1(VALU_DEP_2)
	v_add_co_ci_u32_e32 v1, vcc_lo, v1, v3, vcc_lo
	v_add_co_u32 v2, vcc_lo, v0, s2
	s_wait_alu 0xfffd
	s_delay_alu instid0(VALU_DEP_2)
	v_add_co_ci_u32_e32 v3, vcc_lo, s3, v1, vcc_lo
	s_clause 0x1
	global_load_b64 v[16:17], v[0:1], off
	global_load_b64 v[14:15], v[2:3], off
	v_add_co_u32 v4, vcc_lo, v2, s2
	s_wait_alu 0xfffd
	v_add_co_ci_u32_e32 v5, vcc_lo, s3, v3, vcc_lo
	s_delay_alu instid0(VALU_DEP_2) | instskip(SKIP_1) | instid1(VALU_DEP_2)
	v_add_co_u32 v6, vcc_lo, v4, s2
	s_wait_alu 0xfffd
	v_add_co_ci_u32_e32 v7, vcc_lo, s3, v5, vcc_lo
	s_clause 0x1
	global_load_b64 v[12:13], v[4:5], off
	global_load_b64 v[4:5], v[6:7], off
	v_add_co_u32 v0, vcc_lo, v6, s2
	s_wait_alu 0xfffd
	v_add_co_ci_u32_e32 v1, vcc_lo, s3, v7, vcc_lo
	v_add_nc_u32_e32 v30, 0x1c00, v110
	s_delay_alu instid0(VALU_DEP_3) | instskip(SKIP_1) | instid1(VALU_DEP_3)
	v_add_co_u32 v2, vcc_lo, v0, s2
	s_wait_alu 0xfffd
	v_add_co_ci_u32_e32 v3, vcc_lo, s3, v1, vcc_lo
	global_load_b64 v[6:7], v[0:1], off
	v_add_co_u32 v0, vcc_lo, v2, s2
	s_wait_alu 0xfffd
	v_add_co_ci_u32_e32 v1, vcc_lo, s3, v3, vcc_lo
	global_load_b64 v[8:9], v[2:3], off
	v_add_co_u32 v2, vcc_lo, v0, s2
	s_wait_alu 0xfffd
	v_add_co_ci_u32_e32 v3, vcc_lo, s3, v1, vcc_lo
	global_load_b64 v[0:1], v[0:1], off
	v_add_co_u32 v10, vcc_lo, v2, s2
	s_wait_alu 0xfffd
	v_add_co_ci_u32_e32 v11, vcc_lo, s3, v3, vcc_lo
	global_load_b64 v[2:3], v[2:3], off
	v_add_co_u32 v18, vcc_lo, v10, s2
	s_wait_alu 0xfffd
	v_add_co_ci_u32_e32 v19, vcc_lo, s3, v11, vcc_lo
	global_load_b64 v[10:11], v[10:11], off
	v_add_co_u32 v20, vcc_lo, v18, s2
	s_wait_alu 0xfffd
	v_add_co_ci_u32_e32 v21, vcc_lo, s3, v19, vcc_lo
	global_load_b64 v[18:19], v[18:19], off
	s_clause 0x1
	global_load_b64 v[87:88], v110, s[8:9] offset:11088
	global_load_b64 v[89:90], v110, s[8:9] offset:12320
	global_load_b64 v[20:21], v[20:21], off
	v_add_nc_u32_e32 v29, 0x1200, v110
	v_add_nc_u32_e32 v31, 0x2400, v110
	s_load_b128 s[4:7], s[6:7], 0x0
	s_load_b64 s[2:3], s[0:1], 0x38
	v_cmp_gt_u16_e32 vcc_lo, 0x4d, v22
                                        ; implicit-def: $vgpr22
	s_wait_loadcnt 0xb
	v_mul_f32_e32 v25, v15, v74
	v_mul_f32_e32 v24, v16, v70
	;; [unrolled: 1-line block ×3, first 2 shown]
	s_delay_alu instid0(VALU_DEP_3) | instskip(NEXT) | instid1(VALU_DEP_3)
	v_fmac_f32_e32 v25, v14, v73
	v_fma_f32 v24, v17, v69, -v24
	s_wait_loadcnt 0xa
	v_mul_f32_e32 v14, v13, v72
	s_delay_alu instid0(VALU_DEP_1) | instskip(NEXT) | instid1(VALU_DEP_1)
	v_dual_mul_f32 v23, v17, v70 :: v_dual_fmac_f32 v14, v12, v71
	v_fmac_f32_e32 v23, v16, v69
	v_fma_f32 v26, v15, v73, -v26
	v_mul_f32_e32 v15, v12, v72
	s_wait_loadcnt 0x9
	v_mul_f32_e32 v16, v5, v76
	ds_store_2addr_b64 v110, v[23:24], v[25:26] offset1:154
	v_fma_f32 v15, v13, v71, -v15
	v_mul_f32_e32 v13, v4, v76
	v_fmac_f32_e32 v16, v4, v75
	s_wait_loadcnt 0x8
	v_mul_f32_e32 v4, v7, v78
	s_wait_loadcnt 0x7
	v_dual_mul_f32 v12, v9, v80 :: v_dual_mul_f32 v23, v6, v78
	v_fma_f32 v17, v5, v75, -v13
	s_delay_alu instid0(VALU_DEP_3) | instskip(NEXT) | instid1(VALU_DEP_3)
	v_dual_mul_f32 v13, v8, v80 :: v_dual_fmac_f32 v4, v6, v77
	v_fmac_f32_e32 v12, v8, v79
	s_delay_alu instid0(VALU_DEP_4)
	v_fma_f32 v5, v7, v77, -v23
	s_wait_loadcnt 0x6
	v_mul_f32_e32 v7, v0, v82
	v_mul_f32_e32 v6, v1, v82
	v_fma_f32 v13, v9, v79, -v13
	s_wait_loadcnt 0x5
	v_mul_f32_e32 v8, v3, v86
	v_add_nc_u32_e32 v25, 0x1300, v110
	v_fma_f32 v7, v1, v81, -v7
	s_wait_loadcnt 0x4
	v_mul_f32_e32 v1, v10, v84
	v_dual_mul_f32 v9, v2, v86 :: v_dual_fmac_f32 v6, v0, v81
	s_wait_loadcnt 0x0
	v_dual_mul_f32 v0, v11, v84 :: v_dual_mul_f32 v23, v20, v90
	s_delay_alu instid0(VALU_DEP_2)
	v_fma_f32 v9, v3, v85, -v9
	v_mul_f32_e32 v3, v18, v88
	v_fmac_f32_e32 v8, v2, v85
	v_mul_f32_e32 v2, v19, v88
	v_fmac_f32_e32 v0, v10, v83
	v_mul_f32_e32 v10, v21, v90
	v_fma_f32 v1, v11, v83, -v1
	v_fma_f32 v3, v19, v87, -v3
	v_fmac_f32_e32 v2, v18, v87
	v_fma_f32 v11, v21, v89, -v23
	v_fmac_f32_e32 v10, v20, v89
	ds_store_2addr_b64 v28, v[14:15], v[16:17] offset0:52 offset1:206
	ds_store_2addr_b64 v29, v[4:5], v[12:13] offset0:40 offset1:194
	;; [unrolled: 1-line block ×4, first 2 shown]
	ds_store_b64 v110, v[10:11] offset:12320
	global_wb scope:SCOPE_SE
	s_wait_dscnt 0x0
	s_wait_kmcnt 0x0
	s_barrier_signal -1
	s_barrier_wait -1
	global_inv scope:SCOPE_SE
	ds_load_2addr_b64 v[0:3], v110 offset1:154
	ds_load_b64 v[23:24], v110 offset:12320
	v_and_b32_e32 v12, 0xffff, v27
	ds_load_2addr_b64 v[4:7], v28 offset0:52 offset1:206
	ds_load_2addr_b64 v[8:11], v31 offset0:80 offset1:234
	v_add_nc_u32_e32 v26, 0x1e00, v110
	v_add_nc_u32_e32 v27, 0x2800, v110
	v_lshlrev_b32_e32 v111, 3, v12
	ds_load_2addr_b64 v[12:15], v29 offset0:40 offset1:194
	ds_load_2addr_b64 v[16:19], v30 offset0:28 offset1:182
	global_wb scope:SCOPE_SE
	s_wait_dscnt 0x0
	s_barrier_signal -1
	s_barrier_wait -1
	global_inv scope:SCOPE_SE
	v_dual_add_f32 v20, v0, v2 :: v_dual_add_f32 v21, v1, v3
	v_add_f32_e32 v29, v23, v2
	v_dual_sub_f32 v37, v6, v8 :: v_dual_add_f32 v30, v24, v3
	v_dual_sub_f32 v2, v2, v23 :: v_dual_sub_f32 v33, v4, v10
	v_sub_f32_e32 v3, v3, v24
	v_dual_add_f32 v31, v10, v4 :: v_dual_add_f32 v32, v11, v5
	v_dual_add_f32 v35, v8, v6 :: v_dual_sub_f32 v34, v5, v11
	v_dual_sub_f32 v41, v12, v18 :: v_dual_sub_f32 v38, v7, v9
	v_dual_sub_f32 v45, v14, v16 :: v_dual_add_f32 v40, v19, v13
	s_delay_alu instid0(VALU_DEP_3) | instskip(SKIP_4) | instid1(VALU_DEP_3)
	v_dual_sub_f32 v42, v13, v19 :: v_dual_mul_f32 v53, 0xbf68dda4, v34
	v_dual_sub_f32 v46, v15, v17 :: v_dual_mul_f32 v47, 0xbf68dda4, v3
	v_dual_add_f32 v4, v20, v4 :: v_dual_add_f32 v5, v21, v5
	v_dual_mul_f32 v20, 0xbf0a6770, v3 :: v_dual_mul_f32 v67, 0xbf0a6770, v38
	v_mul_f32_e32 v21, 0xbf0a6770, v2
	v_dual_mul_f32 v48, 0xbf68dda4, v2 :: v_dual_add_f32 v5, v5, v7
	v_dual_mul_f32 v49, 0xbf7d64f0, v3 :: v_dual_mul_f32 v50, 0xbf7d64f0, v2
	v_dual_mul_f32 v51, 0xbf4178ce, v3 :: v_dual_mul_f32 v52, 0xbf4178ce, v2
	v_dual_mul_f32 v3, 0xbe903f40, v3 :: v_dual_mul_f32 v2, 0xbe903f40, v2
	v_dual_add_f32 v36, v9, v7 :: v_dual_add_f32 v43, v16, v14
	v_dual_add_f32 v39, v18, v12 :: v_dual_add_f32 v44, v17, v15
	v_mul_f32_e32 v55, 0xbf4178ce, v34
	v_dual_mul_f32 v57, 0x3e903f40, v34 :: v_dual_mul_f32 v58, 0x3e903f40, v33
	v_dual_mul_f32 v59, 0x3f7d64f0, v34 :: v_dual_mul_f32 v60, 0x3f7d64f0, v33
	v_mul_f32_e32 v34, 0x3f0a6770, v34
	v_dual_mul_f32 v61, 0xbf7d64f0, v38 :: v_dual_mul_f32 v62, 0xbf7d64f0, v37
	v_dual_mul_f32 v63, 0x3e903f40, v38 :: v_dual_mul_f32 v64, 0x3e903f40, v37
	;; [unrolled: 1-line block ×6, first 2 shown]
	v_dual_mul_f32 v97, 0x3f7d64f0, v41 :: v_dual_add_f32 v4, v4, v6
	v_dual_mul_f32 v99, 0xbe903f40, v41 :: v_dual_mul_f32 v100, 0xbe903f40, v46
	v_fma_f32 v6, 0x3f575c64, v29, -v20
	v_mul_f32_e32 v105, 0x3f0a6770, v45
	v_dual_fmamk_f32 v7, v30, 0x3f575c64, v21 :: v_dual_fmac_f32 v20, 0x3f575c64, v29
	v_mul_f32_e32 v54, 0xbf68dda4, v33
	v_mul_f32_e32 v93, 0x3f7d64f0, v42
	v_fma_f32 v21, 0x3f575c64, v30, -v21
	v_mul_f32_e32 v92, 0xbf4178ce, v42
	v_mul_f32_e32 v42, 0x3f68dda4, v42
	v_fma_f32 v108, 0x3ed4b147, v29, -v47
	v_mul_f32_e32 v56, 0xbf4178ce, v33
	v_mul_f32_e32 v33, 0x3f0a6770, v33
	v_dual_fmamk_f32 v112, v30, 0x3ed4b147, v48 :: v_dual_fmac_f32 v47, 0x3ed4b147, v29
	v_mul_f32_e32 v96, 0xbf4178ce, v41
	v_mul_f32_e32 v101, 0x3f0a6770, v46
	v_fma_f32 v48, 0x3ed4b147, v30, -v48
	v_mul_f32_e32 v103, 0x3f68dda4, v46
	v_fma_f32 v113, 0xbe11bafb, v29, -v49
	v_dual_fmamk_f32 v114, v30, 0xbe11bafb, v50 :: v_dual_fmac_f32 v49, 0xbe11bafb, v29
	v_mul_f32_e32 v98, 0xbf0a6770, v41
	v_mul_f32_e32 v41, 0x3f68dda4, v41
	;; [unrolled: 1-line block ×4, first 2 shown]
	v_fma_f32 v50, 0xbe11bafb, v30, -v50
	v_mul_f32_e32 v107, 0x3f68dda4, v45
	v_fma_f32 v115, 0xbf27a4f4, v29, -v51
	v_dual_fmamk_f32 v116, v30, 0xbf27a4f4, v52 :: v_dual_fmac_f32 v51, 0xbf27a4f4, v29
	v_mul_f32_e32 v106, 0xbf4178ce, v45
	v_mul_f32_e32 v45, 0xbf7d64f0, v45
	v_fmamk_f32 v118, v30, 0xbf75a155, v2
	v_fma_f32 v52, 0xbf27a4f4, v30, -v52
	v_fma_f32 v117, 0xbf75a155, v29, -v3
	v_fmac_f32_e32 v3, 0xbf75a155, v29
	v_fma_f32 v2, 0xbf75a155, v30, -v2
	v_fma_f32 v29, 0x3ed4b147, v31, -v53
	v_fmac_f32_e32 v53, 0x3ed4b147, v31
	v_fma_f32 v119, 0xbf27a4f4, v31, -v55
	v_dual_fmamk_f32 v120, v32, 0xbf27a4f4, v56 :: v_dual_fmac_f32 v55, 0xbf27a4f4, v31
	v_fma_f32 v56, 0xbf27a4f4, v32, -v56
	v_fma_f32 v121, 0xbf75a155, v31, -v57
	v_dual_fmamk_f32 v122, v32, 0xbf75a155, v58 :: v_dual_fmac_f32 v57, 0xbf75a155, v31
	v_fma_f32 v58, 0xbf75a155, v32, -v58
	;; [unrolled: 3-line block ×3, first 2 shown]
	v_fma_f32 v125, 0x3f575c64, v31, -v34
	v_dual_fmamk_f32 v126, v32, 0x3f575c64, v33 :: v_dual_add_f32 v5, v5, v13
	v_fmac_f32_e32 v34, 0x3f575c64, v31
	v_fma_f32 v31, 0x3f575c64, v32, -v33
	v_dual_fmamk_f32 v33, v36, 0xbe11bafb, v62 :: v_dual_add_f32 v52, v1, v52
	v_fma_f32 v62, 0xbe11bafb, v36, -v62
	v_fma_f32 v127, 0xbf75a155, v35, -v63
	v_dual_fmamk_f32 v128, v36, 0xbf75a155, v64 :: v_dual_fmac_f32 v63, 0xbf75a155, v35
	v_fma_f32 v64, 0xbf75a155, v36, -v64
	v_fma_f32 v129, 0x3ed4b147, v35, -v65
	v_dual_fmamk_f32 v130, v36, 0x3ed4b147, v66 :: v_dual_fmac_f32 v65, 0x3ed4b147, v35
	v_fma_f32 v66, 0x3ed4b147, v36, -v66
	v_fma_f32 v131, 0x3f575c64, v35, -v67
	v_fmamk_f32 v132, v36, 0x3f575c64, v91
	v_fmac_f32_e32 v67, 0x3f575c64, v35
	v_fma_f32 v91, 0x3f575c64, v36, -v91
	v_fma_f32 v133, 0xbf27a4f4, v35, -v38
	v_fmac_f32_e32 v38, 0xbf27a4f4, v35
	v_fma_f32 v135, 0x3f575c64, v39, -v94
	v_fmac_f32_e32 v94, 0x3f575c64, v39
	;; [unrolled: 2-line block ×3, first 2 shown]
	v_fma_f32 v137, 0x3ed4b147, v39, -v42
	v_dual_fmac_f32 v42, 0x3ed4b147, v39 :: v_dual_fmamk_f32 v141, v40, 0x3ed4b147, v41
	v_fma_f32 v142, 0x3f575c64, v43, -v101
	v_fma_f32 v145, 0xbe11bafb, v43, -v46
	v_dual_fmac_f32 v46, 0xbe11bafb, v43 :: v_dual_fmamk_f32 v149, v44, 0xbe11bafb, v45
	v_dual_add_f32 v6, v0, v6 :: v_dual_add_f32 v7, v1, v7
	v_fmamk_f32 v30, v32, 0x3ed4b147, v54
	v_fma_f32 v54, 0x3ed4b147, v32, -v54
	v_fma_f32 v32, 0xbe11bafb, v35, -v61
	v_fmac_f32_e32 v61, 0xbe11bafb, v35
	v_fmamk_f32 v35, v36, 0xbf27a4f4, v37
	v_fma_f32 v36, 0xbf27a4f4, v36, -v37
	v_fmamk_f32 v138, v40, 0xbe11bafb, v97
	v_fma_f32 v97, 0xbe11bafb, v40, -v97
	v_add_f32_e32 v20, v0, v20
	v_fma_f32 v134, 0xbe11bafb, v39, -v93
	v_dual_fmac_f32 v93, 0xbe11bafb, v39 :: v_dual_add_f32 v4, v4, v12
	v_fmamk_f32 v139, v40, 0x3f575c64, v98
	v_fma_f32 v98, 0x3f575c64, v40, -v98
	v_fmac_f32_e32 v101, 0x3f575c64, v43
	v_add_f32_e32 v21, v1, v21
	v_fma_f32 v37, 0xbf27a4f4, v39, -v92
	v_fmac_f32_e32 v92, 0xbf27a4f4, v39
	v_add_f32_e32 v47, v0, v47
	v_fmamk_f32 v39, v40, 0xbf27a4f4, v96
	v_fma_f32 v96, 0xbf27a4f4, v40, -v96
	v_fmamk_f32 v140, v40, 0xbf75a155, v99
	v_fma_f32 v99, 0xbf75a155, v40, -v99
	v_fma_f32 v40, 0x3ed4b147, v40, -v41
	;; [unrolled: 1-line block ×3, first 2 shown]
	v_fmac_f32_e32 v100, 0xbf75a155, v43
	v_add_f32_e32 v48, v1, v48
	v_fma_f32 v144, 0x3ed4b147, v43, -v103
	v_fmac_f32_e32 v103, 0x3ed4b147, v43
	v_add_f32_e32 v49, v0, v49
	v_fma_f32 v143, 0xbf27a4f4, v43, -v102
	v_fmac_f32_e32 v102, 0xbf27a4f4, v43
	v_fmamk_f32 v43, v44, 0xbf75a155, v104
	v_fma_f32 v104, 0xbf75a155, v44, -v104
	v_add_f32_e32 v50, v1, v50
	v_fmamk_f32 v146, v44, 0x3f575c64, v105
	v_fma_f32 v105, 0x3f575c64, v44, -v105
	v_fmamk_f32 v148, v44, 0x3ed4b147, v107
	v_fma_f32 v107, 0x3ed4b147, v44, -v107
	v_dual_add_f32 v12, v1, v118 :: v_dual_fmamk_f32 v147, v44, 0xbf27a4f4, v106
	v_fma_f32 v106, 0xbf27a4f4, v44, -v106
	v_fma_f32 v44, 0xbe11bafb, v44, -v45
	v_add_f32_e32 v45, v0, v108
	s_delay_alu instid0(VALU_DEP_4)
	v_add_f32_e32 v12, v126, v12
	v_add_f32_e32 v108, v1, v112
	v_dual_add_f32 v112, v0, v113 :: v_dual_add_f32 v113, v1, v114
	v_dual_add_f32 v114, v0, v115 :: v_dual_add_f32 v115, v1, v116
	;; [unrolled: 1-line block ×3, first 2 shown]
	v_add_f32_e32 v51, v0, v51
	v_add_f32_e32 v0, v0, v3
	v_dual_add_f32 v2, v4, v14 :: v_dual_add_f32 v3, v5, v15
	s_delay_alu instid0(VALU_DEP_4)
	v_dual_add_f32 v1, v31, v1 :: v_dual_add_f32 v14, v120, v108
	v_dual_add_f32 v4, v29, v6 :: v_dual_add_f32 v5, v30, v7
	;; [unrolled: 1-line block ×3, first 2 shown]
	v_add_f32_e32 v13, v119, v45
	v_add_f32_e32 v21, v121, v112
	;; [unrolled: 1-line block ×5, first 2 shown]
	v_dual_add_f32 v20, v56, v48 :: v_dual_add_f32 v49, v59, v51
	v_dual_add_f32 v14, v128, v14 :: v_dual_add_f32 v3, v3, v17
	;; [unrolled: 1-line block ×5, first 2 shown]
	v_add_f32_e32 v7, v62, v7
	v_add_f32_e32 v51, v125, v116
	v_dual_add_f32 v47, v123, v114 :: v_dual_add_f32 v4, v32, v4
	v_dual_add_f32 v13, v127, v13 :: v_dual_add_f32 v20, v64, v20
	v_add_f32_e32 v17, v130, v29
	v_dual_add_f32 v16, v129, v21 :: v_dual_add_f32 v31, v132, v48
	v_dual_add_f32 v21, v65, v30 :: v_dual_add_f32 v0, v38, v0
	;; [unrolled: 1-line block ×4, first 2 shown]
	v_add_f32_e32 v15, v63, v15
	v_dual_add_f32 v29, v66, v45 :: v_dual_add_f32 v30, v131, v47
	v_dual_add_f32 v32, v67, v49 :: v_dual_add_f32 v7, v96, v7
	;; [unrolled: 1-line block ×8, first 2 shown]
	v_add_f32_e32 v38, v2, v8
	v_dual_add_f32 v6, v92, v6 :: v_dual_add_f32 v15, v93, v15
	v_dual_add_f32 v16, v135, v16 :: v_dual_add_f32 v29, v98, v29
	;; [unrolled: 1-line block ×7, first 2 shown]
	v_add_f32_e32 v1, v43, v5
	v_dual_add_f32 v2, v142, v13 :: v_dual_add_f32 v5, v105, v18
	v_dual_add_f32 v7, v147, v17 :: v_dual_add_f32 v8, v102, v19
	;; [unrolled: 1-line block ×8, first 2 shown]
	v_add_f32_e32 v10, v46, v36
	v_add_f32_e32 v9, v106, v29
	v_dual_add_f32 v18, v18, v23 :: v_dual_add_f32 v19, v19, v24
	ds_store_2addr_b64 v111, v[12:13], v[16:17] offset0:4 offset1:5
	ds_store_2addr_b64 v111, v[10:11], v[14:15] offset0:6 offset1:7
	;; [unrolled: 1-line block ×3, first 2 shown]
	ds_store_b64 v111, v[20:21] offset:80
	ds_store_2addr_b64 v111, v[18:19], v[0:1] offset1:1
	ds_store_2addr_b64 v111, v[2:3], v[6:7] offset0:2 offset1:3
	global_wb scope:SCOPE_SE
	s_wait_dscnt 0x0
	s_barrier_signal -1
	s_barrier_wait -1
	global_inv scope:SCOPE_SE
	ds_load_2addr_b64 v[8:11], v110 offset1:154
	ds_load_2addr_b64 v[0:3], v25 offset0:8 offset1:239
	ds_load_2addr_b64 v[12:15], v26 offset0:41 offset1:195
	;; [unrolled: 1-line block ×4, first 2 shown]
	s_and_saveexec_b32 s0, vcc_lo
	s_cbranch_execz .LBB0_3
; %bb.2:
	ds_load_b64 v[20:21], v110 offset:6160
	ds_load_b64 v[22:23], v110 offset:12936
.LBB0_3:
	s_wait_alu 0xfffe
	s_or_b32 exec_lo, exec_lo, s0
	v_and_b32_e32 v25, 0xff, v109
	v_add_co_u32 v26, null, 0x268, v109
	v_add_nc_u16 v27, v109, 0x302
	v_add_co_u32 v24, null, 0x9a, v109
	s_delay_alu instid0(VALU_DEP_4) | instskip(NEXT) | instid1(VALU_DEP_4)
	v_mul_lo_u16 v25, 0x75, v25
	v_and_b32_e32 v29, 0xffff, v26
	s_delay_alu instid0(VALU_DEP_4) | instskip(NEXT) | instid1(VALU_DEP_4)
	v_and_b32_e32 v30, 0xffff, v27
	v_and_b32_e32 v33, 0xffff, v24
	v_add_co_u32 v28, null, 0x134, v109
	v_lshrrev_b16 v25, 8, v25
	v_mul_u32_u24_e32 v29, 0xba2f, v29
	v_mul_u32_u24_e32 v30, 0xba2f, v30
	s_delay_alu instid0(VALU_DEP_4)
	v_and_b32_e32 v34, 0xffff, v28
	v_add_co_u32 v31, null, 0x1ce, v109
	v_sub_nc_u16 v32, v109, v25
	v_lshrrev_b32_e32 v29, 19, v29
	v_lshrrev_b32_e32 v112, 19, v30
	v_mul_u32_u24_e32 v30, 0xba2f, v33
	v_mul_u32_u24_e32 v34, 0xba2f, v34
	v_lshrrev_b16 v32, 1, v32
	v_mul_lo_u16 v33, v29, 11
	v_mul_lo_u16 v36, v112, 11
	v_lshrrev_b32_e32 v30, 19, v30
	s_delay_alu instid0(VALU_DEP_4) | instskip(NEXT) | instid1(VALU_DEP_4)
	v_and_b32_e32 v32, 0x7f, v32
	v_sub_nc_u16 v26, v26, v33
	s_delay_alu instid0(VALU_DEP_4) | instskip(SKIP_1) | instid1(VALU_DEP_4)
	v_sub_nc_u16 v114, v27, v36
	v_lshrrev_b32_e32 v27, 19, v34
	v_add_nc_u16 v25, v32, v25
	s_delay_alu instid0(VALU_DEP_4) | instskip(NEXT) | instid1(VALU_DEP_4)
	v_and_b32_e32 v32, 0xffff, v26
	v_and_b32_e32 v34, 0xffff, v114
	v_mad_u16 v26, v29, 22, v26
	v_mul_lo_u16 v37, v27, 11
	v_lshrrev_b16 v25, 3, v25
	v_lshlrev_b32_e32 v32, 3, v32
	v_lshlrev_b32_e32 v34, 3, v34
	v_and_b32_e32 v26, 0xffff, v26
	v_sub_nc_u16 v28, v28, v37
	v_mul_lo_u16 v36, v25, 11
	s_clause 0x1
	global_load_b64 v[93:94], v32, s[10:11]
	global_load_b64 v[91:92], v34, s[10:11]
	v_and_b32_e32 v25, 0xffff, v25
	v_lshlrev_b32_e32 v115, 3, v26
	v_sub_nc_u16 v32, v109, v36
	v_and_b32_e32 v36, 0xffff, v28
	v_mad_u16 v27, v27, 22, v28
	v_mul_u32_u24_e32 v25, 22, v25
	s_delay_alu instid0(VALU_DEP_4) | instskip(NEXT) | instid1(VALU_DEP_1)
	v_and_b32_e32 v32, 0xff, v32
	v_add_lshl_u32 v119, v25, v32, 3
	s_wait_loadcnt_dscnt 0x100
	v_mul_f32_e32 v25, v19, v94
	v_mul_f32_e32 v26, v18, v94
	s_delay_alu instid0(VALU_DEP_2) | instskip(NEXT) | instid1(VALU_DEP_2)
	v_fma_f32 v18, v18, v93, -v25
	v_dual_fmac_f32 v26, v19, v93 :: v_dual_and_b32 v35, 0xffff, v31
	s_delay_alu instid0(VALU_DEP_2) | instskip(NEXT) | instid1(VALU_DEP_2)
	v_sub_f32_e32 v18, v0, v18
	v_mul_u32_u24_e32 v35, 0xba2f, v35
	s_delay_alu instid0(VALU_DEP_3) | instskip(NEXT) | instid1(VALU_DEP_3)
	v_sub_f32_e32 v19, v1, v26
	v_fma_f32 v0, v0, 2.0, -v18
	s_delay_alu instid0(VALU_DEP_3) | instskip(SKIP_1) | instid1(VALU_DEP_4)
	v_lshrrev_b32_e32 v33, 19, v35
	v_mul_lo_u16 v35, v30, 11
	v_fma_f32 v1, v1, 2.0, -v19
	s_delay_alu instid0(VALU_DEP_3) | instskip(NEXT) | instid1(VALU_DEP_3)
	v_mul_lo_u16 v38, v33, 11
	v_sub_nc_u16 v35, v24, v35
	s_delay_alu instid0(VALU_DEP_2) | instskip(NEXT) | instid1(VALU_DEP_2)
	v_sub_nc_u16 v31, v31, v38
	v_and_b32_e32 v34, 0xffff, v35
	v_mad_u16 v30, v30, 22, v35
	s_delay_alu instid0(VALU_DEP_3) | instskip(SKIP_1) | instid1(VALU_DEP_4)
	v_mad_u16 v28, v33, 22, v31
	v_and_b32_e32 v38, 0xffff, v31
	v_lshlrev_b32_e32 v34, 3, v34
	s_delay_alu instid0(VALU_DEP_3) | instskip(NEXT) | instid1(VALU_DEP_1)
	v_and_b32_e32 v28, 0xffff, v28
	v_lshlrev_b32_e32 v116, 3, v28
	s_wait_loadcnt 0x0
	v_mul_f32_e32 v28, v22, v92
	s_delay_alu instid0(VALU_DEP_1) | instskip(SKIP_4) | instid1(VALU_DEP_3)
	v_dual_fmac_f32 v28, v23, v91 :: v_dual_lshlrev_b32 v37, 3, v32
	global_load_b64 v[101:102], v37, s[10:11]
	v_and_b32_e32 v27, 0xffff, v27
	v_lshlrev_b32_e32 v37, 3, v38
	v_sub_f32_e32 v45, v21, v28
	v_lshlrev_b32_e32 v117, 3, v27
	v_mul_f32_e32 v27, v23, v92
	s_delay_alu instid0(VALU_DEP_1) | instskip(NEXT) | instid1(VALU_DEP_1)
	v_fma_f32 v22, v22, v91, -v27
	v_sub_f32_e32 v44, v20, v22
	s_wait_loadcnt 0x0
	v_mul_f32_e32 v23, v2, v102
	v_mul_f32_e32 v22, v3, v102
	s_delay_alu instid0(VALU_DEP_2) | instskip(NEXT) | instid1(VALU_DEP_2)
	v_fmac_f32_e32 v23, v3, v101
	v_fma_f32 v2, v2, v101, -v22
	s_delay_alu instid0(VALU_DEP_2)
	v_dual_sub_f32 v3, v9, v23 :: v_dual_lshlrev_b32 v36, 3, v36
	s_clause 0x2
	global_load_b64 v[99:100], v34, s[10:11]
	global_load_b64 v[97:98], v36, s[10:11]
	;; [unrolled: 1-line block ×3, first 2 shown]
	v_and_b32_e32 v29, 0xffff, v30
	v_sub_f32_e32 v2, v8, v2
	v_fma_f32 v9, v9, 2.0, -v3
	global_wb scope:SCOPE_SE
	s_wait_loadcnt 0x0
	s_barrier_signal -1
	s_barrier_wait -1
	v_fma_f32 v8, v8, 2.0, -v2
	global_inv scope:SCOPE_SE
	v_mul_f32_e32 v25, v13, v100
	v_mul_f32_e32 v26, v12, v100
	v_dual_mul_f32 v30, v16, v96 :: v_dual_mul_f32 v27, v15, v98
	v_mul_f32_e32 v28, v14, v98
	v_dual_mul_f32 v29, v17, v96 :: v_dual_lshlrev_b32 v118, 3, v29
	v_fma_f32 v12, v12, v99, -v25
	v_fmac_f32_e32 v26, v13, v99
	v_fma_f32 v14, v14, v97, -v27
	v_fmac_f32_e32 v28, v15, v97
	v_fma_f32 v16, v16, v95, -v29
	v_fmac_f32_e32 v30, v17, v95
	v_dual_sub_f32 v12, v10, v12 :: v_dual_sub_f32 v13, v11, v26
	s_delay_alu instid0(VALU_DEP_4) | instskip(NEXT) | instid1(VALU_DEP_3)
	v_dual_sub_f32 v14, v4, v14 :: v_dual_sub_f32 v15, v5, v28
	v_dual_sub_f32 v16, v6, v16 :: v_dual_sub_f32 v17, v7, v30
	s_delay_alu instid0(VALU_DEP_3) | instskip(NEXT) | instid1(VALU_DEP_4)
	v_fma_f32 v10, v10, 2.0, -v12
	v_fma_f32 v11, v11, 2.0, -v13
	s_delay_alu instid0(VALU_DEP_4)
	v_fma_f32 v4, v4, 2.0, -v14
	v_fma_f32 v5, v5, 2.0, -v15
	;; [unrolled: 1-line block ×4, first 2 shown]
	ds_store_2addr_b64 v119, v[8:9], v[2:3] offset1:11
	ds_store_2addr_b64 v118, v[10:11], v[12:13] offset1:11
	;; [unrolled: 1-line block ×5, first 2 shown]
	s_and_saveexec_b32 s0, vcc_lo
	s_cbranch_execz .LBB0_5
; %bb.4:
	v_mad_u16 v0, v112, 22, v114
	v_fma_f32 v1, v21, 2.0, -v45
	s_delay_alu instid0(VALU_DEP_2) | instskip(SKIP_1) | instid1(VALU_DEP_2)
	v_and_b32_e32 v2, 0xffff, v0
	v_fma_f32 v0, v20, 2.0, -v44
	v_lshlrev_b32_e32 v2, 3, v2
	ds_store_2addr_b64 v2, v[0:1], v[44:45] offset1:11
.LBB0_5:
	s_wait_alu 0xfffe
	s_or_b32 exec_lo, exec_lo, s0
	v_lshrrev_b16 v0, 1, v109
	global_wb scope:SCOPE_SE
	s_wait_dscnt 0x0
	s_barrier_signal -1
	s_barrier_wait -1
	global_inv scope:SCOPE_SE
	v_and_b32_e32 v0, 0x7f, v0
	s_delay_alu instid0(VALU_DEP_1) | instskip(NEXT) | instid1(VALU_DEP_1)
	v_mul_lo_u16 v0, 0xbb, v0
	v_lshrrev_b16 v29, 11, v0
	s_delay_alu instid0(VALU_DEP_1) | instskip(NEXT) | instid1(VALU_DEP_1)
	v_mul_lo_u16 v0, v29, 22
	v_sub_nc_u16 v0, v109, v0
	s_delay_alu instid0(VALU_DEP_1) | instskip(NEXT) | instid1(VALU_DEP_1)
	v_and_b32_e32 v43, 0xff, v0
	v_mad_co_u64_u32 v[8:9], null, 0x50, v43, s[10:11]
	s_clause 0x4
	global_load_b128 v[16:19], v[8:9], off offset:88
	global_load_b128 v[12:15], v[8:9], off offset:104
	;; [unrolled: 1-line block ×5, first 2 shown]
	v_add_nc_u32_e32 v25, 0x800, v110
	v_and_b32_e32 v37, 0xffff, v29
	ds_load_2addr_b64 v[20:23], v110 offset1:154
	ds_load_b64 v[41:42], v110 offset:12320
	ds_load_2addr_b64 v[25:28], v25 offset0:52 offset1:206
	v_add_nc_u32_e32 v30, 0x1200, v110
	v_add_nc_u32_e32 v33, 0x1c00, v110
	s_wait_loadcnt_dscnt 0x400
	v_dual_mul_f32 v47, v26, v19 :: v_dual_add_nc_u32 v38, 0x2400, v110
	s_wait_loadcnt 0x3
	v_mul_f32_e32 v49, v28, v13
	ds_load_2addr_b64 v[29:32], v30 offset0:40 offset1:194
	v_mul_f32_e32 v48, v25, v19
	ds_load_2addr_b64 v[33:36], v33 offset0:28 offset1:182
	v_dual_mul_f32 v50, v27, v13 :: v_dual_add_nc_u32 v121, 0xf00, v110
	v_add_nc_u32_e32 v120, 0x1e00, v110
	s_wait_loadcnt 0x0
	v_mul_f32_e32 v64, v41, v11
	s_delay_alu instid0(VALU_DEP_1)
	v_fmac_f32_e32 v64, v42, v10
	s_wait_dscnt 0x1
	v_mul_f32_e32 v52, v29, v15
	v_mul_u32_u24_e32 v46, 0xf2, v37
	ds_load_2addr_b64 v[37:40], v38 offset0:80 offset1:234
	s_wait_dscnt 0x1
	v_dual_mul_f32 v53, v32, v5 :: v_dual_mul_f32 v56, v33, v7
	v_dual_mul_f32 v55, v34, v7 :: v_dual_mul_f32 v58, v35, v1
	v_add_lshl_u32 v113, v46, v43, 3
	v_mul_f32_e32 v43, v23, v17
	v_mul_f32_e32 v46, v22, v17
	;; [unrolled: 1-line block ×3, first 2 shown]
	v_dual_mul_f32 v51, v30, v15 :: v_dual_mul_f32 v54, v31, v5
	v_mul_f32_e32 v57, v36, v1
	v_fma_f32 v22, v22, v16, -v43
	v_fmac_f32_e32 v46, v23, v16
	v_fma_f32 v23, v25, v18, -v47
	v_fma_f32 v25, v27, v12, -v49
	v_fmac_f32_e32 v50, v28, v12
	v_fma_f32 v27, v31, v4, -v53
	v_fma_f32 v28, v33, v6, -v55
	;; [unrolled: 1-line block ×3, first 2 shown]
	s_wait_dscnt 0x0
	v_mul_f32_e32 v61, v40, v9
	v_dual_mul_f32 v59, v38, v3 :: v_dual_mul_f32 v62, v39, v9
	v_mul_f32_e32 v60, v37, v3
	v_fmac_f32_e32 v48, v26, v18
	v_fma_f32 v26, v29, v14, -v51
	v_fmac_f32_e32 v52, v30, v14
	v_fma_f32 v29, v35, v0, -v57
	v_fmac_f32_e32 v54, v32, v4
	v_fma_f32 v30, v37, v2, -v59
	v_fma_f32 v31, v39, v8, -v61
	v_dual_add_f32 v32, v20, v22 :: v_dual_sub_f32 v37, v46, v64
	v_fmac_f32_e32 v60, v38, v2
	v_add_f32_e32 v35, v22, v33
	v_dual_add_f32 v57, v27, v28 :: v_dual_sub_f32 v22, v22, v33
	v_fmac_f32_e32 v62, v40, v8
	v_fmac_f32_e32 v56, v34, v6
	v_dual_fmac_f32 v58, v36, v0 :: v_dual_sub_f32 v53, v26, v29
	v_sub_f32_e32 v61, v27, v28
	v_dual_sub_f32 v40, v23, v31 :: v_dual_mul_f32 v65, 0xbf68dda4, v37
	s_delay_alu instid0(VALU_DEP_3)
	v_add_f32_e32 v51, v52, v58
	v_dual_add_f32 v34, v21, v46 :: v_dual_add_f32 v43, v50, v60
	v_dual_add_f32 v38, v23, v31 :: v_dual_sub_f32 v47, v50, v60
	v_mul_f32_e32 v103, 0xbf7d64f0, v22
	v_sub_f32_e32 v41, v48, v62
	v_add_f32_e32 v39, v48, v62
	v_add_f32_e32 v49, v26, v29
	v_sub_f32_e32 v55, v52, v58
	v_dual_add_f32 v23, v32, v23 :: v_dual_add_f32 v32, v34, v48
	v_dual_add_f32 v42, v25, v30 :: v_dual_add_f32 v59, v54, v56
	v_dual_sub_f32 v63, v54, v56 :: v_dual_mul_f32 v34, 0xbf0a6770, v37
	v_dual_mul_f32 v133, 0xbf0a6770, v47 :: v_dual_mul_f32 v48, 0xbf0a6770, v22
	v_mul_f32_e32 v139, 0xbf0a6770, v55
	v_dual_mul_f32 v66, 0xbf68dda4, v22 :: v_dual_mul_f32 v107, 0xbf68dda4, v40
	v_dual_mul_f32 v67, 0xbf7d64f0, v37 :: v_dual_add_f32 v36, v46, v64
	v_sub_f32_e32 v46, v25, v30
	v_dual_mul_f32 v104, 0xbf4178ce, v37 :: v_dual_mul_f32 v105, 0xbf4178ce, v22
	v_mul_f32_e32 v106, 0xbf68dda4, v41
	v_mul_f32_e32 v108, 0xbf4178ce, v41
	v_dual_mul_f32 v123, 0x3e903f40, v41 :: v_dual_mul_f32 v124, 0x3e903f40, v40
	v_dual_mul_f32 v125, 0x3f7d64f0, v41 :: v_dual_mul_f32 v126, 0x3f7d64f0, v40
	v_mul_f32_e32 v41, 0x3f0a6770, v41
	v_dual_mul_f32 v37, 0xbe903f40, v37 :: v_dual_mul_f32 v22, 0xbe903f40, v22
	v_dual_mul_f32 v122, 0xbf4178ce, v40 :: v_dual_mul_f32 v135, 0xbf4178ce, v55
	v_mul_f32_e32 v40, 0x3f0a6770, v40
	v_dual_mul_f32 v127, 0xbf7d64f0, v47 :: v_dual_mul_f32 v128, 0xbf7d64f0, v46
	v_dual_mul_f32 v129, 0x3e903f40, v47 :: v_dual_mul_f32 v130, 0x3e903f40, v46
	v_dual_mul_f32 v131, 0x3f68dda4, v47 :: v_dual_mul_f32 v132, 0x3f68dda4, v46
	v_dual_mul_f32 v134, 0xbf0a6770, v46 :: v_dual_add_f32 v23, v23, v25
	v_dual_mul_f32 v47, 0xbf4178ce, v47 :: v_dual_mul_f32 v46, 0xbf4178ce, v46
	v_mul_f32_e32 v147, 0xbf4178ce, v63
	v_dual_mul_f32 v137, 0x3f7d64f0, v55 :: v_dual_mul_f32 v138, 0x3f7d64f0, v53
	v_dual_mul_f32 v141, 0xbe903f40, v55 :: v_dual_mul_f32 v142, 0xbe903f40, v53
	;; [unrolled: 1-line block ×5, first 2 shown]
	v_add_f32_e32 v25, v32, v50
	v_fma_f32 v32, 0x3f575c64, v35, -v34
	v_fmamk_f32 v50, v36, 0x3f575c64, v48
	v_fmac_f32_e32 v34, 0x3f575c64, v35
	v_fma_f32 v48, 0x3f575c64, v36, -v48
	v_fma_f32 v151, 0x3ed4b147, v35, -v65
	v_mul_f32_e32 v136, 0xbf4178ce, v53
	v_dual_fmamk_f32 v152, v36, 0x3ed4b147, v66 :: v_dual_fmac_f32 v65, 0x3ed4b147, v35
	v_mul_f32_e32 v140, 0xbf0a6770, v53
	v_dual_mul_f32 v53, 0x3f68dda4, v53 :: v_dual_add_f32 v32, v20, v32
	v_fma_f32 v66, 0x3ed4b147, v36, -v66
	v_fma_f32 v153, 0xbe11bafb, v35, -v67
	v_fmamk_f32 v154, v36, 0xbe11bafb, v103
	v_dual_fmac_f32 v67, 0xbe11bafb, v35 :: v_dual_fmamk_f32 v164, v39, 0xbe11bafb, v126
	v_mul_f32_e32 v148, 0xbf4178ce, v61
	v_dual_mul_f32 v61, 0xbf7d64f0, v61 :: v_dual_add_f32 v48, v21, v48
	v_fma_f32 v103, 0xbe11bafb, v36, -v103
	v_fmamk_f32 v156, v36, 0xbf27a4f4, v105
	v_fma_f32 v105, 0xbf27a4f4, v36, -v105
	v_fma_f32 v165, 0x3f575c64, v38, -v41
	v_fmac_f32_e32 v41, 0x3f575c64, v38
	v_dual_mul_f32 v149, 0x3f68dda4, v63 :: v_dual_add_f32 v50, v21, v50
	v_fma_f32 v171, 0x3f575c64, v42, -v133
	v_fmac_f32_e32 v133, 0x3f575c64, v42
	v_dual_mul_f32 v63, 0xbf7d64f0, v63 :: v_dual_add_f32 v34, v20, v34
	v_fma_f32 v155, 0xbf27a4f4, v35, -v104
	v_fmac_f32_e32 v104, 0xbf27a4f4, v35
	v_fma_f32 v157, 0xbf75a155, v35, -v37
	v_dual_fmamk_f32 v158, v36, 0xbf75a155, v22 :: v_dual_fmac_f32 v37, 0xbf75a155, v35
	v_fma_f32 v22, 0xbf75a155, v36, -v22
	v_fma_f32 v35, 0x3ed4b147, v38, -v106
	v_dual_fmamk_f32 v36, v39, 0x3ed4b147, v107 :: v_dual_add_f32 v65, v20, v65
	v_fmac_f32_e32 v106, 0x3ed4b147, v38
	v_fma_f32 v107, 0x3ed4b147, v39, -v107
	v_fma_f32 v159, 0xbf27a4f4, v38, -v108
	v_fmamk_f32 v160, v39, 0xbf27a4f4, v122
	v_fmac_f32_e32 v108, 0xbf27a4f4, v38
	v_fma_f32 v122, 0xbf27a4f4, v39, -v122
	v_fma_f32 v161, 0xbf75a155, v38, -v123
	v_dual_fmamk_f32 v162, v39, 0xbf75a155, v124 :: v_dual_fmac_f32 v123, 0xbf75a155, v38
	v_fma_f32 v124, 0xbf75a155, v39, -v124
	v_fma_f32 v163, 0xbe11bafb, v38, -v125
	v_fmac_f32_e32 v125, 0xbe11bafb, v38
	v_fma_f32 v126, 0xbe11bafb, v39, -v126
	v_fmamk_f32 v166, v39, 0x3f575c64, v40
	v_fma_f32 v38, 0x3f575c64, v39, -v40
	v_fma_f32 v39, 0xbe11bafb, v42, -v127
	v_dual_fmamk_f32 v40, v43, 0xbe11bafb, v128 :: v_dual_fmac_f32 v127, 0xbe11bafb, v42
	v_fmamk_f32 v176, v51, 0xbe11bafb, v138
	v_fma_f32 v128, 0xbe11bafb, v43, -v128
	v_fma_f32 v167, 0xbf75a155, v42, -v129
	v_dual_fmamk_f32 v168, v43, 0xbf75a155, v130 :: v_dual_fmac_f32 v129, 0xbf75a155, v42
	v_fma_f32 v130, 0xbf75a155, v43, -v130
	v_fma_f32 v169, 0x3ed4b147, v42, -v131
	v_dual_fmamk_f32 v170, v43, 0x3ed4b147, v132 :: v_dual_fmac_f32 v131, 0x3ed4b147, v42
	v_fma_f32 v132, 0x3ed4b147, v43, -v132
	v_fmamk_f32 v172, v43, 0x3f575c64, v134
	v_fma_f32 v134, 0x3f575c64, v43, -v134
	v_fma_f32 v173, 0xbf27a4f4, v42, -v47
	v_dual_fmamk_f32 v174, v43, 0xbf27a4f4, v46 :: v_dual_fmac_f32 v47, 0xbf27a4f4, v42
	v_fma_f32 v42, 0xbf27a4f4, v43, -v46
	v_fma_f32 v43, 0xbf27a4f4, v49, -v135
	v_dual_fmamk_f32 v46, v51, 0xbf27a4f4, v136 :: v_dual_fmac_f32 v135, 0xbf27a4f4, v49
	v_fma_f32 v136, 0xbf27a4f4, v51, -v136
	v_fma_f32 v175, 0xbe11bafb, v49, -v137
	v_dual_fmac_f32 v137, 0xbe11bafb, v49 :: v_dual_add_f32 v66, v21, v66
	v_fma_f32 v138, 0xbe11bafb, v51, -v138
	v_fma_f32 v177, 0x3f575c64, v49, -v139
	v_fmac_f32_e32 v139, 0x3f575c64, v49
	v_fma_f32 v179, 0xbf75a155, v49, -v141
	v_dual_fmamk_f32 v180, v51, 0xbf75a155, v142 :: v_dual_fmac_f32 v141, 0xbf75a155, v49
	v_fma_f32 v142, 0xbf75a155, v51, -v142
	v_fma_f32 v181, 0x3ed4b147, v49, -v55
	v_dual_fmamk_f32 v182, v51, 0x3ed4b147, v53 :: v_dual_add_f32 v25, v25, v52
	v_fmac_f32_e32 v55, 0x3ed4b147, v49
	v_fma_f32 v49, 0x3ed4b147, v51, -v53
	v_fma_f32 v183, 0x3f575c64, v57, -v145
	v_dual_fmamk_f32 v184, v59, 0x3f575c64, v146 :: v_dual_fmac_f32 v145, 0x3f575c64, v57
	v_fma_f32 v146, 0x3f575c64, v59, -v146
	v_fma_f32 v185, 0xbf27a4f4, v57, -v147
	v_fmac_f32_e32 v147, 0xbf27a4f4, v57
	v_fma_f32 v187, 0x3ed4b147, v57, -v149
	v_dual_fmamk_f32 v188, v59, 0x3ed4b147, v150 :: v_dual_fmac_f32 v149, 0x3ed4b147, v57
	v_fma_f32 v150, 0x3ed4b147, v59, -v150
	v_fma_f32 v189, 0xbe11bafb, v57, -v63
	v_dual_fmac_f32 v63, 0xbe11bafb, v57 :: v_dual_add_f32 v104, v20, v104
	v_fmamk_f32 v190, v59, 0xbe11bafb, v61
	v_fma_f32 v61, 0xbe11bafb, v59, -v61
	v_dual_add_f32 v67, v20, v67 :: v_dual_fmamk_f32 v186, v59, 0xbf27a4f4, v148
	v_fma_f32 v148, 0xbf27a4f4, v59, -v148
	v_add_f32_e32 v103, v21, v103
	v_fmamk_f32 v53, v59, 0xbf75a155, v144
	v_fma_f32 v144, 0xbf75a155, v59, -v144
	v_add_f32_e32 v59, v21, v152
	v_add_f32_e32 v152, v21, v154
	v_fmamk_f32 v178, v51, 0x3f575c64, v140
	v_fma_f32 v140, 0x3f575c64, v51, -v140
	v_fma_f32 v51, 0xbf75a155, v57, -v143
	v_add_f32_e32 v105, v21, v105
	v_dual_fmac_f32 v143, 0xbf75a155, v57 :: v_dual_add_f32 v154, v21, v156
	v_add_f32_e32 v57, v20, v151
	v_add_f32_e32 v23, v23, v26
	v_add_f32_e32 v151, v20, v153
	v_add_f32_e32 v153, v20, v155
	v_add_f32_e32 v155, v20, v157
	v_add_f32_e32 v20, v20, v37
	v_add_f32_e32 v26, v21, v158
	v_dual_add_f32 v21, v21, v22 :: v_dual_add_f32 v22, v23, v27
	v_add_f32_e32 v37, v108, v65
	v_add_f32_e32 v23, v25, v54
	;; [unrolled: 1-line block ×4, first 2 shown]
	v_dual_add_f32 v32, v106, v34 :: v_dual_add_f32 v35, v159, v57
	v_dual_add_f32 v34, v107, v48 :: v_dual_add_f32 v57, v124, v103
	;; [unrolled: 1-line block ×11, first 2 shown]
	s_delay_alu instid0(VALU_DEP_4)
	v_dual_add_f32 v28, v127, v32 :: v_dual_add_f32 v21, v42, v21
	v_add_f32_e32 v32, v128, v34
	v_dual_add_f32 v34, v167, v35 :: v_dual_add_f32 v35, v168, v36
	v_dual_add_f32 v36, v129, v37 :: v_dual_add_f32 v39, v170, v52
	;; [unrolled: 1-line block ×3, first 2 shown]
	v_add_f32_e32 v25, v43, v25
	v_dual_add_f32 v40, v131, v54 :: v_dual_add_f32 v27, v46, v27
	v_add_f32_e32 v48, v171, v59
	v_dual_add_f32 v50, v172, v65 :: v_dual_add_f32 v23, v23, v58
	;; [unrolled: 2-line block ×3, first 2 shown]
	v_add_f32_e32 v56, v173, v103
	v_add_f32_e32 v32, v175, v34
	v_dual_add_f32 v34, v176, v35 :: v_dual_add_f32 v35, v137, v36
	v_add_f32_e32 v36, v138, v37
	v_add_f32_e32 v52, v133, v66
	v_dual_add_f32 v20, v47, v20 :: v_dual_add_f32 v37, v177, v38
	v_dual_add_f32 v38, v178, v39 :: v_dual_add_f32 v59, v144, v29
	;; [unrolled: 1-line block ×3, first 2 shown]
	s_delay_alu instid0(VALU_DEP_4)
	v_dual_add_f32 v43, v141, v52 :: v_dual_add_f32 v40, v140, v41
	v_add_f32_e32 v41, v179, v48
	v_add_f32_e32 v47, v181, v56
	v_dual_add_f32 v65, v22, v30 :: v_dual_add_f32 v60, v23, v60
	v_add_f32_e32 v23, v184, v34
	v_add_f32_e32 v57, v146, v36
	s_delay_alu instid0(VALU_DEP_4)
	v_dual_add_f32 v29, v189, v47 :: v_dual_add_f32 v46, v142, v54
	v_add_f32_e32 v28, v135, v28
	v_add_f32_e32 v42, v180, v50
	;; [unrolled: 1-line block ×3, first 2 shown]
	v_dual_add_f32 v54, v55, v20 :: v_dual_add_f32 v55, v49, v21
	v_dual_add_f32 v20, v51, v25 :: v_dual_add_f32 v21, v53, v27
	;; [unrolled: 1-line block ×3, first 2 shown]
	v_add_f32_e32 v51, v148, v40
	v_dual_add_f32 v49, v150, v46 :: v_dual_add_f32 v56, v145, v35
	v_dual_add_f32 v34, v65, v31 :: v_dual_add_f32 v31, v63, v54
	v_add_f32_e32 v35, v60, v62
	v_add_f32_e32 v26, v186, v38
	;; [unrolled: 1-line block ×3, first 2 shown]
	v_dual_add_f32 v27, v187, v41 :: v_dual_add_f32 v28, v188, v42
	v_add_f32_e32 v30, v190, v52
	v_add_f32_e32 v48, v149, v43
	;; [unrolled: 1-line block ×4, first 2 shown]
	global_wb scope:SCOPE_SE
	s_barrier_signal -1
	s_barrier_wait -1
	global_inv scope:SCOPE_SE
	ds_store_2addr_b64 v113, v[22:23], v[25:26] offset0:44 offset1:66
	v_dual_add_f32 v23, v35, v64 :: v_dual_add_f32 v22, v34, v33
	ds_store_2addr_b64 v113, v[27:28], v[29:30] offset0:88 offset1:110
	ds_store_2addr_b64 v113, v[31:32], v[48:49] offset0:132 offset1:154
	;; [unrolled: 1-line block ×3, first 2 shown]
	ds_store_b64 v113, v[58:59] offset:1760
	ds_store_2addr_b64 v113, v[22:23], v[20:21] offset1:22
	global_wb scope:SCOPE_SE
	s_wait_dscnt 0x0
	s_barrier_signal -1
	s_barrier_wait -1
	global_inv scope:SCOPE_SE
	ds_load_2addr_b64 v[52:55], v110 offset1:242
	ds_load_2addr_b64 v[64:67], v121 offset0:4 offset1:246
	ds_load_2addr_b64 v[60:63], v120 offset0:8 offset1:250
	ds_load_b64 v[107:108], v110 offset:11616
	v_add_co_u32 v105, s0, s8, v110
	s_wait_alu 0xf1ff
	v_add_co_ci_u32_e64 v106, null, s9, 0, s0
	v_cmp_gt_u16_e64 s0, 0x58, v109
                                        ; implicit-def: $vgpr103
	s_delay_alu instid0(VALU_DEP_1)
	s_and_saveexec_b32 s1, s0
	s_cbranch_execz .LBB0_7
; %bb.6:
	v_add_nc_u32_e32 v20, 0x480, v110
	v_add_nc_u32_e32 v21, 0x13c0, v110
	v_add_nc_u32_e32 v22, 0x2300, v110
	ds_load_2addr_b64 v[48:51], v20 offset0:10 offset1:252
	ds_load_2addr_b64 v[56:59], v21 offset0:6 offset1:248
	;; [unrolled: 1-line block ×3, first 2 shown]
	ds_load_b64 v[103:104], v110 offset:12848
.LBB0_7:
	s_wait_alu 0xfffe
	s_or_b32 exec_lo, exec_lo, s1
	v_mad_co_u64_u32 v[20:21], null, v109, 48, s[10:11]
	s_clause 0x2
	global_load_b128 v[40:43], v[20:21], off offset:1848
	global_load_b128 v[36:39], v[20:21], off offset:1864
	;; [unrolled: 1-line block ×3, first 2 shown]
	s_wait_loadcnt_dscnt 0x202
	v_dual_mul_f32 v125, v64, v43 :: v_dual_add_nc_u32 v20, 0xffffffa8, v109
	s_delay_alu instid0(VALU_DEP_1)
	v_cndmask_b32_e64 v20, v20, v24, s0
	s_wait_loadcnt_dscnt 0x101
	v_dual_mul_f32 v122, v55, v41 :: v_dual_mul_f32 v129, v60, v39
	s_wait_loadcnt_dscnt 0x0
	v_dual_mul_f32 v131, v62, v33 :: v_dual_mul_f32 v132, v108, v35
	v_mul_i32_i24_e32 v21, 48, v20
	v_mul_hi_i32_i24_e32 v20, 48, v20
	v_dual_mul_f32 v123, v54, v41 :: v_dual_mul_f32 v124, v65, v43
	v_dual_mul_f32 v126, v67, v37 :: v_dual_fmac_f32 v125, v65, v42
	s_delay_alu instid0(VALU_DEP_4)
	v_add_co_u32 v28, s1, s10, v21
	s_wait_alu 0xf1ff
	v_add_co_ci_u32_e64 v29, s1, s11, v20, s1
	v_dual_mul_f32 v127, v66, v37 :: v_dual_mul_f32 v128, v61, v39
	s_clause 0x2
	global_load_b128 v[24:27], v[28:29], off offset:1848
	global_load_b128 v[20:23], v[28:29], off offset:1864
	;; [unrolled: 1-line block ×3, first 2 shown]
	v_fma_f32 v54, v54, v40, -v122
	v_fma_f32 v65, v107, v34, -v132
	v_mul_f32_e32 v133, v107, v35
	v_mul_f32_e32 v130, v63, v33
	v_fmac_f32_e32 v123, v55, v40
	v_fma_f32 v55, v64, v42, -v124
	v_fma_f32 v64, v66, v36, -v126
	;; [unrolled: 1-line block ×3, first 2 shown]
	v_fmac_f32_e32 v133, v108, v34
	v_fmac_f32_e32 v129, v61, v38
	v_fma_f32 v61, v62, v32, -v130
	v_dual_fmac_f32 v127, v67, v36 :: v_dual_add_f32 v62, v54, v65
	v_dual_sub_f32 v54, v54, v65 :: v_dual_add_f32 v107, v64, v60
	s_delay_alu instid0(VALU_DEP_3) | instskip(SKIP_2) | instid1(VALU_DEP_3)
	v_add_f32_e32 v66, v55, v61
	v_sub_f32_e32 v55, v55, v61
	v_dual_sub_f32 v65, v123, v133 :: v_dual_sub_f32 v60, v60, v64
	v_sub_f32_e32 v136, v66, v62
	v_add_f32_e32 v134, v66, v62
	s_wait_loadcnt 0x2
	v_mul_f32_e32 v124, v57, v27
	s_wait_loadcnt 0x1
	v_dual_mul_f32 v128, v45, v23 :: v_dual_fmac_f32 v131, v63, v32
	v_dual_sub_f32 v64, v129, v127 :: v_dual_add_f32 v63, v123, v133
	v_add_f32_e32 v108, v127, v129
	s_delay_alu instid0(VALU_DEP_3)
	v_dual_mul_f32 v122, v51, v25 :: v_dual_add_f32 v67, v125, v131
	v_sub_f32_e32 v61, v125, v131
	s_wait_loadcnt 0x0
	v_dual_mul_f32 v125, v56, v27 :: v_dual_mul_f32 v130, v47, v29
	v_mul_f32_e32 v126, v59, v21
	v_dual_mul_f32 v123, v50, v25 :: v_dual_sub_f32 v66, v107, v66
	v_mul_f32_e32 v129, v44, v23
	v_dual_mul_f32 v132, v104, v31 :: v_dual_mul_f32 v127, v58, v21
	v_add_f32_e32 v138, v60, v55
	v_mul_f32_e32 v133, v103, v31
	v_dual_mul_f32 v131, v46, v29 :: v_dual_sub_f32 v140, v60, v55
	v_dual_add_f32 v135, v67, v63 :: v_dual_sub_f32 v60, v54, v60
	v_sub_f32_e32 v137, v67, v63
	v_sub_f32_e32 v67, v108, v67
	;; [unrolled: 1-line block ×4, first 2 shown]
	v_fma_f32 v50, v50, v24, -v122
	v_fmac_f32_e32 v133, v104, v30
	v_fmac_f32_e32 v129, v45, v22
	v_fma_f32 v45, v46, v28, -v130
	v_fma_f32 v46, v103, v30, -v132
	v_dual_add_f32 v54, v138, v54 :: v_dual_add_f32 v139, v64, v61
	v_dual_mul_f32 v104, 0x3d64c772, v67 :: v_dual_sub_f32 v61, v61, v65
	v_dual_fmac_f32 v123, v51, v24 :: v_dual_sub_f32 v62, v62, v107
	v_sub_f32_e32 v63, v63, v108
	v_fma_f32 v51, v56, v26, -v124
	v_fmac_f32_e32 v125, v57, v26
	v_fma_f32 v56, v58, v20, -v126
	v_add_f32_e32 v58, v139, v65
	v_fmac_f32_e32 v127, v59, v20
	v_fma_f32 v44, v44, v22, -v128
	v_add_f32_e32 v126, v50, v46
	v_sub_f32_e32 v46, v50, v46
	v_mul_f32_e32 v124, 0x3f5ff5aa, v61
	v_add_f32_e32 v128, v123, v133
	v_fmac_f32_e32 v131, v47, v28
	v_dual_sub_f32 v64, v65, v64 :: v_dual_add_f32 v47, v107, v134
	v_mul_f32_e32 v122, 0x3f5ff5aa, v55
	s_delay_alu instid0(VALU_DEP_3)
	v_add_f32_e32 v130, v125, v131
	v_dual_add_f32 v57, v108, v135 :: v_dual_sub_f32 v50, v123, v133
	v_mul_f32_e32 v65, 0x3f4a47b2, v63
	v_mul_f32_e32 v108, 0xbf08b237, v141
	v_add_f32_e32 v123, v51, v45
	v_sub_f32_e32 v45, v51, v45
	v_sub_f32_e32 v51, v125, v131
	v_add_f32_e32 v125, v56, v44
	v_mul_f32_e32 v107, 0xbf08b237, v140
	v_dual_sub_f32 v44, v44, v56 :: v_dual_mul_f32 v59, 0x3f4a47b2, v62
	v_dual_add_f32 v62, v52, v47 :: v_dual_mul_f32 v103, 0x3d64c772, v66
	v_dual_sub_f32 v56, v129, v127 :: v_dual_add_f32 v131, v127, v129
	s_delay_alu instid0(VALU_DEP_3) | instskip(SKIP_1) | instid1(VALU_DEP_4)
	v_dual_add_f32 v63, v53, v57 :: v_dual_fmamk_f32 v52, v66, 0x3d64c772, v59
	v_fmamk_f32 v53, v67, 0x3d64c772, v65
	v_fma_f32 v66, 0x3f3bfb3b, v136, -v103
	v_fma_f32 v67, 0x3f3bfb3b, v137, -v104
	v_fmamk_f32 v103, v60, 0x3eae86e6, v107
	v_fmamk_f32 v104, v64, 0x3eae86e6, v108
	v_fma_f32 v60, 0xbeae86e6, v60, -v122
	v_sub_f32_e32 v122, v126, v125
	v_fma_f32 v127, 0x3f5ff5aa, v55, -v107
	v_add_f32_e32 v55, v123, v126
	v_fma_f32 v61, 0x3f5ff5aa, v61, -v108
	v_fma_f32 v124, 0xbeae86e6, v64, -v124
	v_dual_add_f32 v64, v130, v128 :: v_dual_sub_f32 v107, v123, v126
	v_sub_f32_e32 v108, v130, v128
	v_sub_f32_e32 v126, v128, v131
	v_dual_sub_f32 v128, v131, v130 :: v_dual_add_f32 v129, v44, v45
	v_fmac_f32_e32 v60, 0x3ee1c552, v54
	v_add_f32_e32 v130, v56, v51
	v_dual_sub_f32 v133, v56, v51 :: v_dual_fmac_f32 v124, 0x3ee1c552, v58
	v_sub_f32_e32 v56, v50, v56
	v_sub_f32_e32 v134, v51, v50
	v_fmamk_f32 v47, v47, 0xbf955555, v62
	v_fmamk_f32 v51, v57, 0xbf955555, v63
	v_add_f32_e32 v57, v125, v55
	v_fma_f32 v59, 0xbf3bfb3b, v136, -v59
	v_fma_f32 v65, 0xbf3bfb3b, v137, -v65
	v_dual_sub_f32 v123, v125, v123 :: v_dual_fmac_f32 v104, 0x3ee1c552, v58
	v_sub_f32_e32 v132, v44, v45
	v_dual_sub_f32 v44, v46, v44 :: v_dual_sub_f32 v45, v45, v46
	v_dual_fmac_f32 v61, 0x3ee1c552, v58 :: v_dual_add_f32 v58, v131, v64
	v_add_f32_e32 v46, v129, v46
	v_add_f32_e32 v129, v130, v50
	v_mul_f32_e32 v50, 0x3f4a47b2, v122
	v_mul_f32_e32 v122, 0xbf08b237, v132
	;; [unrolled: 1-line block ×3, first 2 shown]
	v_dual_mul_f32 v130, 0x3f5ff5aa, v134 :: v_dual_add_f32 v131, v52, v47
	v_dual_fmac_f32 v127, 0x3ee1c552, v54 :: v_dual_add_f32 v48, v48, v57
	v_dual_fmac_f32 v103, 0x3ee1c552, v54 :: v_dual_add_f32 v132, v53, v51
	v_mul_f32_e32 v54, 0x3f4a47b2, v126
	v_dual_mul_f32 v126, 0x3f5ff5aa, v45 :: v_dual_add_f32 v135, v67, v51
	v_fma_f32 v138, 0x3f3bfb3b, v108, -v64
	v_dual_add_f32 v64, v104, v131 :: v_dual_mul_f32 v125, 0xbf08b237, v133
	v_add_f32_e32 v133, v66, v47
	v_dual_add_f32 v47, v59, v47 :: v_dual_fmamk_f32 v128, v128, 0x3d64c772, v54
	v_add_f32_e32 v59, v65, v51
	v_add_f32_e32 v49, v49, v58
	v_dual_mul_f32 v55, 0x3d64c772, v123 :: v_dual_fmamk_f32 v136, v123, 0x3d64c772, v50
	v_fma_f32 v139, 0xbf3bfb3b, v107, -v50
	v_fma_f32 v140, 0xbf3bfb3b, v108, -v54
	v_fmamk_f32 v50, v44, 0x3eae86e6, v122
	v_fma_f32 v52, 0x3f5ff5aa, v45, -v122
	v_fma_f32 v54, 0xbeae86e6, v44, -v126
	v_dual_add_f32 v66, v124, v47 :: v_dual_sub_f32 v67, v59, v60
	v_fmamk_f32 v44, v57, 0xbf955555, v48
	v_dual_sub_f32 v124, v47, v124 :: v_dual_fmamk_f32 v45, v58, 0xbf955555, v49
	v_fma_f32 v137, 0x3f3bfb3b, v107, -v55
	v_fma_f32 v55, 0xbeae86e6, v56, -v130
	v_dual_sub_f32 v107, v133, v61 :: v_dual_fmac_f32 v50, 0x3ee1c552, v46
	v_dual_add_f32 v108, v127, v135 :: v_dual_fmamk_f32 v51, v56, 0x3eae86e6, v125
	v_add_f32_e32 v122, v61, v133
	v_fma_f32 v53, 0x3f5ff5aa, v134, -v125
	v_dual_add_f32 v125, v60, v59 :: v_dual_fmac_f32 v54, 0x3ee1c552, v46
	v_add_f32_e32 v56, v136, v44
	v_add_f32_e32 v59, v128, v45
	v_dual_sub_f32 v65, v132, v103 :: v_dual_sub_f32 v126, v131, v104
	v_dual_sub_f32 v123, v135, v127 :: v_dual_fmac_f32 v52, 0x3ee1c552, v46
	v_dual_add_f32 v127, v103, v132 :: v_dual_add_f32 v60, v138, v45
	v_dual_fmac_f32 v51, 0x3ee1c552, v129 :: v_dual_add_f32 v58, v139, v44
	v_dual_fmac_f32 v55, 0x3ee1c552, v129 :: v_dual_add_f32 v104, v50, v59
	v_fmac_f32_e32 v53, 0x3ee1c552, v129
	v_add_f32_e32 v57, v137, v44
	s_delay_alu instid0(VALU_DEP_3) | instskip(SKIP_1) | instid1(VALU_DEP_3)
	v_dual_add_f32 v61, v140, v45 :: v_dual_sub_f32 v46, v58, v55
	v_sub_f32_e32 v45, v60, v52
	v_dual_sub_f32 v103, v56, v51 :: v_dual_add_f32 v44, v53, v57
	s_delay_alu instid0(VALU_DEP_3)
	v_add_f32_e32 v47, v54, v61
	ds_store_2addr_b64 v110, v[62:63], v[64:65] offset1:242
	ds_store_2addr_b64 v121, v[66:67], v[107:108] offset0:4 offset1:246
	ds_store_2addr_b64 v120, v[122:123], v[124:125] offset0:8 offset1:250
	ds_store_b64 v110, v[126:127] offset:11616
	s_and_saveexec_b32 s1, s0
	s_cbranch_execz .LBB0_9
; %bb.8:
	v_dual_add_f32 v63, v52, v60 :: v_dual_sub_f32 v62, v57, v53
	v_dual_sub_f32 v53, v61, v54 :: v_dual_add_f32 v54, v51, v56
	v_add_f32_e32 v52, v55, v58
	v_sub_f32_e32 v55, v59, v50
	v_add_nc_u32_e32 v50, 0x480, v110
	v_add_nc_u32_e32 v51, 0x13c0, v110
	;; [unrolled: 1-line block ×3, first 2 shown]
	ds_store_2addr_b64 v50, v[48:49], v[54:55] offset0:10 offset1:252
	ds_store_2addr_b64 v51, v[52:53], v[62:63] offset0:6 offset1:248
	;; [unrolled: 1-line block ×3, first 2 shown]
	ds_store_b64 v110, v[103:104] offset:12848
.LBB0_9:
	s_wait_alu 0xfffe
	s_or_b32 exec_lo, exec_lo, s1
	s_add_nc_u64 s[8:9], s[8:9], 0x34f0
	global_wb scope:SCOPE_SE
	s_wait_dscnt 0x0
	s_barrier_signal -1
	s_barrier_wait -1
	global_inv scope:SCOPE_SE
	s_clause 0xa
	global_load_b64 v[52:53], v[105:106], off offset:13552
	global_load_b64 v[54:55], v110, s[8:9] offset:1232
	global_load_b64 v[65:66], v110, s[8:9] offset:2464
	;; [unrolled: 1-line block ×10, first 2 shown]
	ds_load_2addr_b64 v[48:51], v110 offset1:154
	v_add_nc_u32_e32 v136, 0x1200, v110
	s_wait_loadcnt_dscnt 0xa00
	v_dual_mul_f32 v57, v49, v53 :: v_dual_add_nc_u32 v138, 0x2400, v110
	s_wait_loadcnt 0x9
	v_mul_f32_e32 v58, v51, v55
	v_dual_mul_f32 v56, v48, v53 :: v_dual_mul_f32 v53, v50, v55
	s_delay_alu instid0(VALU_DEP_3) | instskip(NEXT) | instid1(VALU_DEP_2)
	v_fma_f32 v55, v48, v52, -v57
	v_dual_fmac_f32 v56, v49, v52 :: v_dual_fmac_f32 v53, v51, v54
	s_delay_alu instid0(VALU_DEP_4)
	v_fma_f32 v52, v50, v54, -v58
	ds_store_2addr_b64 v110, v[55:56], v[52:53] offset1:154
	ds_load_2addr_b64 v[52:55], v136 offset0:40 offset1:194
	v_add_nc_u32_e32 v60, 0x800, v110
	s_wait_loadcnt_dscnt 0x600
	v_dual_mul_f32 v140, v53, v108 :: v_dual_add_nc_u32 v137, 0x1c00, v110
	s_wait_loadcnt 0x5
	v_mul_f32_e32 v141, v55, v121
	ds_load_2addr_b64 v[48:51], v60 offset0:52 offset1:206
	ds_load_2addr_b64 v[56:59], v137 offset0:28 offset1:182
	;; [unrolled: 1-line block ×3, first 2 shown]
	ds_load_b64 v[132:133], v110 offset:12320
	s_wait_loadcnt_dscnt 0x302
	v_dual_mul_f32 v143, v59, v125 :: v_dual_mul_f32 v134, v49, v66
	v_mul_f32_e32 v67, v48, v66
	v_mul_f32_e32 v139, v51, v106
	v_dual_mul_f32 v135, v50, v106 :: v_dual_mul_f32 v142, v57, v123
	v_mul_f32_e32 v106, v52, v108
	v_dual_mul_f32 v108, v54, v121 :: v_dual_mul_f32 v121, v56, v123
	v_mul_f32_e32 v123, v58, v125
	s_wait_loadcnt_dscnt 0x101
	v_dual_mul_f32 v144, v62, v127 :: v_dual_mul_f32 v145, v64, v129
	s_delay_alu instid0(VALU_DEP_3)
	v_dual_mul_f32 v125, v61, v127 :: v_dual_fmac_f32 v108, v55, v120
	s_wait_loadcnt_dscnt 0x0
	v_dual_mul_f32 v127, v63, v129 :: v_dual_mul_f32 v146, v133, v131
	v_mul_f32_e32 v129, v132, v131
	v_fma_f32 v66, v48, v65, -v134
	v_fmac_f32_e32 v67, v49, v65
	v_fma_f32 v134, v50, v105, -v139
	v_dual_fmac_f32 v135, v51, v105 :: v_dual_fmac_f32 v106, v53, v107
	v_fma_f32 v105, v52, v107, -v140
	v_fma_f32 v107, v54, v120, -v141
	;; [unrolled: 1-line block ×3, first 2 shown]
	v_fmac_f32_e32 v121, v57, v122
	v_fma_f32 v122, v58, v124, -v143
	v_fmac_f32_e32 v123, v59, v124
	v_fma_f32 v124, v61, v126, -v144
	;; [unrolled: 2-line block ×4, first 2 shown]
	v_fmac_f32_e32 v129, v133, v130
	ds_store_2addr_b64 v60, v[66:67], v[134:135] offset0:52 offset1:206
	ds_store_2addr_b64 v136, v[105:106], v[107:108] offset0:40 offset1:194
	;; [unrolled: 1-line block ×4, first 2 shown]
	ds_store_b64 v110, v[128:129] offset:12320
	global_wb scope:SCOPE_SE
	s_wait_dscnt 0x0
	s_barrier_signal -1
	s_barrier_wait -1
	global_inv scope:SCOPE_SE
	ds_load_2addr_b64 v[52:55], v110 offset1:154
	ds_load_b64 v[56:57], v110 offset:12320
	ds_load_2addr_b64 v[61:64], v60 offset0:52 offset1:206
	ds_load_2addr_b64 v[48:51], v138 offset0:80 offset1:234
	;; [unrolled: 1-line block ×4, first 2 shown]
	v_add_nc_u32_e32 v67, 0x1300, v110
	v_add_nc_u32_e32 v125, 0x2800, v110
	;; [unrolled: 1-line block ×3, first 2 shown]
	global_wb scope:SCOPE_SE
	s_wait_dscnt 0x0
	s_barrier_signal -1
	s_barrier_wait -1
	global_inv scope:SCOPE_SE
	v_dual_add_f32 v58, v52, v54 :: v_dual_add_f32 v59, v53, v55
	v_dual_add_f32 v66, v57, v55 :: v_dual_sub_f32 v55, v55, v57
	v_sub_f32_e32 v128, v61, v50
	s_delay_alu instid0(VALU_DEP_3) | instskip(SKIP_1) | instid1(VALU_DEP_4)
	v_dual_add_f32 v65, v56, v54 :: v_dual_add_f32 v58, v58, v61
	v_dual_sub_f32 v54, v54, v56 :: v_dual_add_f32 v127, v51, v62
	v_mul_f32_e32 v142, 0xbf68dda4, v55
	v_dual_sub_f32 v129, v62, v51 :: v_dual_sub_f32 v136, v105, v122
	v_add_f32_e32 v131, v49, v64
	v_dual_sub_f32 v133, v64, v49 :: v_dual_mul_f32 v144, 0xbf7d64f0, v55
	v_dual_sub_f32 v137, v106, v123 :: v_dual_sub_f32 v140, v107, v120
	s_delay_alu instid0(VALU_DEP_4) | instskip(SKIP_1) | instid1(VALU_DEP_4)
	v_dual_add_f32 v59, v59, v62 :: v_dual_mul_f32 v150, 0xbf4178ce, v129
	v_mul_f32_e32 v62, 0x3f575c64, v66
	v_dual_mul_f32 v145, 0xbe11bafb, v66 :: v_dual_fmamk_f32 v182, v65, 0xbe11bafb, v144
	v_add_f32_e32 v126, v50, v61
	v_add_f32_e32 v130, v48, v63
	v_sub_f32_e32 v132, v63, v48
	v_dual_add_f32 v135, v123, v106 :: v_dual_mul_f32 v146, 0xbf4178ce, v55
	v_dual_add_f32 v139, v121, v108 :: v_dual_mul_f32 v148, 0xbf68dda4, v129
	v_dual_sub_f32 v141, v108, v121 :: v_dual_add_f32 v58, v58, v63
	v_dual_mul_f32 v61, 0xbf0a6770, v55 :: v_dual_mul_f32 v162, 0xbf0a6770, v133
	v_dual_mul_f32 v143, 0x3ed4b147, v66 :: v_dual_fmamk_f32 v180, v65, 0x3ed4b147, v142
	v_dual_mul_f32 v147, 0xbf27a4f4, v66 :: v_dual_fmamk_f32 v184, v65, 0xbf27a4f4, v146
	v_mul_f32_e32 v66, 0xbf75a155, v66
	v_dual_mul_f32 v55, 0xbe903f40, v55 :: v_dual_mul_f32 v170, 0xbe903f40, v137
	v_mul_f32_e32 v149, 0x3ed4b147, v127
	v_dual_mul_f32 v151, 0xbf27a4f4, v127 :: v_dual_fmamk_f32 v188, v126, 0xbf27a4f4, v150
	v_dual_mul_f32 v152, 0x3e903f40, v129 :: v_dual_add_f32 v59, v59, v64
	s_delay_alu instid0(VALU_DEP_4)
	v_dual_mul_f32 v153, 0xbf75a155, v127 :: v_dual_fmamk_f32 v186, v65, 0xbf75a155, v55
	v_dual_mul_f32 v154, 0x3f7d64f0, v129 :: v_dual_fmamk_f32 v183, v54, 0x3f7d64f0, v145
	v_mul_f32_e32 v155, 0xbe11bafb, v127
	v_dual_mul_f32 v129, 0x3f0a6770, v129 :: v_dual_fmamk_f32 v64, v54, 0x3f0a6770, v62
	v_mul_f32_e32 v127, 0x3f575c64, v127
	v_dual_mul_f32 v156, 0xbf7d64f0, v133 :: v_dual_fmac_f32 v145, 0xbf7d64f0, v54
	v_dual_mul_f32 v163, 0x3f575c64, v131 :: v_dual_fmamk_f32 v200, v130, 0x3f575c64, v162
	v_fma_f32 v144, 0xbe11bafb, v65, -v144
	v_add_f32_e32 v134, v122, v105
	v_add_f32_e32 v138, v120, v107
	v_mul_f32_e32 v157, 0xbe11bafb, v131
	v_dual_mul_f32 v158, 0x3e903f40, v133 :: v_dual_fmamk_f32 v187, v54, 0x3e903f40, v66
	v_dual_mul_f32 v159, 0xbf75a155, v131 :: v_dual_fmamk_f32 v190, v126, 0xbf75a155, v152
	;; [unrolled: 1-line block ×3, first 2 shown]
	v_mul_f32_e32 v161, 0x3ed4b147, v131
	v_dual_mul_f32 v133, 0xbf4178ce, v133 :: v_dual_add_f32 v64, v53, v64
	v_mul_f32_e32 v131, 0xbf27a4f4, v131
	v_mul_f32_e32 v164, 0xbf4178ce, v137
	v_dual_mul_f32 v171, 0xbf75a155, v135 :: v_dual_fmamk_f32 v196, v130, 0xbf75a155, v158
	v_dual_mul_f32 v172, 0xbe903f40, v141 :: v_dual_fmamk_f32 v191, v128, 0xbe903f40, v153
	;; [unrolled: 1-line block ×3, first 2 shown]
	v_mul_f32_e32 v176, 0xbf4178ce, v141
	v_dual_fmamk_f32 v63, v65, 0x3f575c64, v61 :: v_dual_add_f32 v58, v58, v105
	v_fma_f32 v61, 0x3f575c64, v65, -v61
	v_fmac_f32_e32 v62, 0xbf0a6770, v54
	v_fma_f32 v142, 0x3ed4b147, v65, -v142
	v_fmac_f32_e32 v143, 0xbf68dda4, v54
	v_fmamk_f32 v185, v54, 0x3f4178ce, v147
	v_fma_f32 v146, 0xbf27a4f4, v65, -v146
	v_fmac_f32_e32 v147, 0xbf4178ce, v54
	v_fma_f32 v55, 0xbf75a155, v65, -v55
	v_dual_fmac_f32 v66, 0xbe903f40, v54 :: v_dual_fmamk_f32 v197, v132, 0xbe903f40, v159
	v_fmamk_f32 v54, v126, 0x3ed4b147, v148
	v_dual_mul_f32 v178, 0x3f68dda4, v141 :: v_dual_fmamk_f32 v65, v128, 0x3f68dda4, v149
	v_mul_f32_e32 v179, 0x3ed4b147, v139
	v_fmac_f32_e32 v153, 0x3e903f40, v128
	v_fmamk_f32 v192, v126, 0xbe11bafb, v154
	v_mul_f32_e32 v166, 0x3f7d64f0, v137
	v_fmamk_f32 v194, v126, 0x3f575c64, v129
	v_dual_mul_f32 v168, 0xbf0a6770, v137 :: v_dual_fmamk_f32 v195, v128, 0xbf0a6770, v127
	v_dual_mul_f32 v174, 0x3f0a6770, v141 :: v_dual_fmac_f32 v127, 0x3f0a6770, v128
	v_mul_f32_e32 v175, 0x3f575c64, v139
	v_mul_f32_e32 v141, 0xbf7d64f0, v141
	v_dual_add_f32 v59, v59, v106 :: v_dual_add_f32 v144, v52, v144
	v_fmamk_f32 v189, v128, 0x3f4178ce, v151
	v_fmac_f32_e32 v151, 0xbf4178ce, v128
	v_dual_mul_f32 v177, 0xbf27a4f4, v139 :: v_dual_fmamk_f32 v214, v138, 0xbf27a4f4, v176
	v_mul_f32_e32 v139, 0xbe11bafb, v139
	v_add_f32_e32 v145, v53, v145
	v_fmamk_f32 v201, v132, 0x3f0a6770, v163
	v_fmac_f32_e32 v163, 0xbf0a6770, v132
	v_dual_mul_f32 v137, 0x3f68dda4, v137 :: v_dual_add_f32 v62, v53, v62
	v_mul_f32_e32 v165, 0xbf27a4f4, v135
	v_dual_mul_f32 v169, 0x3f575c64, v135 :: v_dual_fmamk_f32 v206, v134, 0x3f575c64, v168
	v_fma_f32 v148, 0x3ed4b147, v126, -v148
	v_dual_fmac_f32 v149, 0xbf68dda4, v128 :: v_dual_add_f32 v146, v52, v146
	v_fma_f32 v150, 0xbf27a4f4, v126, -v150
	v_fma_f32 v152, 0xbf75a155, v126, -v152
	;; [unrolled: 1-line block ×5, first 2 shown]
	v_fmamk_f32 v198, v130, 0x3ed4b147, v160
	v_fmamk_f32 v199, v132, 0xbf68dda4, v161
	v_fma_f32 v160, 0x3ed4b147, v130, -v160
	v_fmac_f32_e32 v161, 0x3f68dda4, v132
	v_fma_f32 v162, 0x3f575c64, v130, -v162
	v_fmamk_f32 v202, v130, 0xbf27a4f4, v133
	v_fmamk_f32 v203, v132, 0x3f4178ce, v131
	v_fmac_f32_e32 v131, 0xbf4178ce, v132
	v_fma_f32 v168, 0x3f575c64, v134, -v168
	v_fmamk_f32 v209, v136, 0x3e903f40, v171
	v_fma_f32 v170, 0xbf75a155, v134, -v170
	v_fmamk_f32 v210, v134, 0x3ed4b147, v137
	v_fmamk_f32 v212, v138, 0x3f575c64, v174
	v_fmamk_f32 v215, v140, 0x3f4178ce, v177
	v_fmac_f32_e32 v177, 0xbf4178ce, v140
	v_fmamk_f32 v216, v138, 0x3ed4b147, v178
	v_fmamk_f32 v217, v140, 0xbf68dda4, v179
	v_fmac_f32_e32 v179, 0x3f68dda4, v140
	v_fmamk_f32 v219, v140, 0x3f7d64f0, v139
	v_fmac_f32_e32 v139, 0xbf7d64f0, v140
	v_add_f32_e32 v63, v52, v63
	v_fmamk_f32 v193, v128, 0xbf7d64f0, v155
	v_fmac_f32_e32 v155, 0x3f7d64f0, v128
	v_dual_mul_f32 v167, 0xbe11bafb, v135 :: v_dual_fmamk_f32 v204, v134, 0xbe11bafb, v166
	v_mul_f32_e32 v135, 0x3ed4b147, v135
	v_fmamk_f32 v128, v130, 0xbe11bafb, v156
	v_dual_fmamk_f32 v129, v132, 0x3f7d64f0, v157 :: v_dual_add_f32 v62, v149, v62
	v_fma_f32 v156, 0xbe11bafb, v130, -v156
	v_fmac_f32_e32 v157, 0xbf7d64f0, v132
	v_fma_f32 v130, 0xbf27a4f4, v130, -v133
	v_fma_f32 v166, 0xbe11bafb, v134, -v166
	v_fmamk_f32 v213, v140, 0xbf0a6770, v175
	v_fmac_f32_e32 v175, 0x3f0a6770, v140
	v_add_f32_e32 v61, v52, v61
	v_dual_add_f32 v106, v53, v181 :: v_dual_fmac_f32 v159, 0x3e903f40, v132
	v_fmamk_f32 v132, v134, 0xbf27a4f4, v164
	v_fma_f32 v164, 0xbf27a4f4, v134, -v164
	v_fma_f32 v134, 0x3ed4b147, v134, -v137
	v_fmamk_f32 v137, v140, 0x3e903f40, v173
	v_fmac_f32_e32 v173, 0xbe903f40, v140
	v_add_f32_e32 v105, v52, v180
	v_add_f32_e32 v140, v52, v142
	;; [unrolled: 1-line block ×7, first 2 shown]
	v_dual_add_f32 v54, v54, v63 :: v_dual_fmamk_f32 v205, v136, 0xbf7d64f0, v167
	v_dual_add_f32 v62, v157, v62 :: v_dual_fmac_f32 v167, 0x3f7d64f0, v136
	s_delay_alu instid0(VALU_DEP_2) | instskip(SKIP_2) | instid1(VALU_DEP_3)
	v_dual_add_f32 v55, v55, v120 :: v_dual_add_f32 v54, v128, v54
	v_dual_add_f32 v58, v59, v108 :: v_dual_add_f32 v63, v188, v105
	v_dual_fmamk_f32 v133, v136, 0x3f4178ce, v165 :: v_dual_add_f32 v52, v126, v52
	v_add_f32_e32 v55, v55, v122
	s_delay_alu instid0(VALU_DEP_3)
	v_dual_fmac_f32 v165, 0xbf4178ce, v136 :: v_dual_add_f32 v58, v58, v121
	v_fma_f32 v174, 0x3f575c64, v138, -v174
	v_fma_f32 v176, 0xbf27a4f4, v138, -v176
	;; [unrolled: 1-line block ×3, first 2 shown]
	v_dual_fmamk_f32 v218, v138, 0xbe11bafb, v141 :: v_dual_add_f32 v59, v65, v64
	v_dual_add_f32 v64, v189, v106 :: v_dual_fmamk_f32 v207, v136, 0x3f0a6770, v169
	v_fmac_f32_e32 v169, 0xbf0a6770, v136
	v_dual_add_f32 v105, v190, v142 :: v_dual_add_f32 v108, v153, v145
	v_fmamk_f32 v211, v136, 0xbf68dda4, v135
	v_dual_fmac_f32 v135, 0x3f68dda4, v136 :: v_dual_add_f32 v58, v58, v123
	v_dual_add_f32 v142, v154, v146 :: v_dual_fmac_f32 v171, 0xbe903f40, v136
	v_fmamk_f32 v136, v138, 0xbf75a155, v172
	v_fma_f32 v172, 0xbf75a155, v138, -v172
	v_fma_f32 v138, 0xbe11bafb, v138, -v141
	v_add_f32_e32 v141, v53, v143
	v_add_f32_e32 v143, v53, v183
	;; [unrolled: 1-line block ×6, first 2 shown]
	v_dual_add_f32 v140, v192, v180 :: v_dual_add_f32 v181, v53, v185
	s_delay_alu instid0(VALU_DEP_4) | instskip(SKIP_1) | instid1(VALU_DEP_3)
	v_dual_add_f32 v183, v53, v187 :: v_dual_add_f32 v48, v136, v54
	v_add_f32_e32 v63, v204, v63
	v_dual_add_f32 v120, v200, v140 :: v_dual_add_f32 v147, v53, v147
	v_dual_add_f32 v53, v53, v66 :: v_dual_add_f32 v66, v151, v141
	v_add_f32_e32 v106, v191, v143
	v_add_f32_e32 v108, v161, v108
	v_dual_add_f32 v50, v132, v50 :: v_dual_add_f32 v65, v158, v65
	s_delay_alu instid0(VALU_DEP_4) | instskip(NEXT) | instid1(VALU_DEP_2)
	v_dual_add_f32 v66, v159, v66 :: v_dual_add_f32 v107, v152, v144
	v_dual_add_f32 v141, v193, v181 :: v_dual_add_f32 v50, v50, v56
	;; [unrolled: 1-line block ×3, first 2 shown]
	v_add_f32_e32 v106, v199, v106
	v_add_f32_e32 v52, v130, v52
	v_dual_add_f32 v62, v165, v62 :: v_dual_add_f32 v65, v166, v65
	v_add_f32_e32 v66, v167, v66
	v_add_f32_e32 v130, v169, v108
	v_dual_add_f32 v108, v208, v120 :: v_dual_add_f32 v143, v155, v147
	v_dual_add_f32 v53, v127, v53 :: v_dual_add_f32 v64, v197, v64
	;; [unrolled: 1-line block ×4, first 2 shown]
	v_add_f32_e32 v106, v173, v62
	v_dual_add_f32 v62, v177, v130 :: v_dual_add_f32 v127, v163, v143
	v_dual_add_f32 v54, v174, v65 :: v_dual_add_f32 v59, v129, v59
	v_add_f32_e32 v129, v203, v145
	v_dual_add_f32 v120, v209, v121 :: v_dual_add_f32 v121, v170, v126
	s_delay_alu instid0(VALU_DEP_4) | instskip(NEXT) | instid1(VALU_DEP_3)
	v_dual_add_f32 v126, v171, v127 :: v_dual_add_f32 v127, v210, v128
	v_dual_add_f32 v128, v211, v129 :: v_dual_add_f32 v129, v134, v52
	v_add_f32_e32 v52, v212, v63
	v_add_f32_e32 v63, v216, v108
	;; [unrolled: 1-line block ×3, first 2 shown]
	s_delay_alu instid0(VALU_DEP_4) | instskip(SKIP_2) | instid1(VALU_DEP_4)
	v_dual_add_f32 v108, v219, v128 :: v_dual_add_f32 v105, v198, v105
	v_add_f32_e32 v64, v205, v64
	v_add_f32_e32 v59, v133, v59
	;; [unrolled: 1-line block ×9, first 2 shown]
	s_delay_alu instid0(VALU_DEP_4)
	v_dual_add_f32 v58, v214, v122 :: v_dual_add_f32 v61, v156, v61
	v_add_f32_e32 v107, v160, v107
	v_add_f32_e32 v51, v133, v51
	;; [unrolled: 1-line block ×5, first 2 shown]
	v_dual_add_f32 v107, v168, v107 :: v_dual_add_f32 v66, v179, v126
	v_add_f32_e32 v121, v139, v131
	v_add_f32_e32 v49, v137, v59
	s_delay_alu instid0(VALU_DEP_4) | instskip(NEXT) | instid1(VALU_DEP_4)
	v_add_f32_e32 v105, v172, v61
	v_add_f32_e32 v61, v176, v107
	;; [unrolled: 1-line block ×5, first 2 shown]
	ds_store_2addr_b64 v111, v[63:64], v[107:108] offset0:4 offset1:5
	ds_store_2addr_b64 v111, v[120:121], v[65:66] offset0:6 offset1:7
	;; [unrolled: 1-line block ×3, first 2 shown]
	ds_store_b64 v111, v[105:106] offset:80
	ds_store_2addr_b64 v111, v[52:53], v[58:59] offset0:2 offset1:3
	ds_store_2addr_b64 v111, v[50:51], v[48:49] offset1:1
	global_wb scope:SCOPE_SE
	s_wait_dscnt 0x0
	s_barrier_signal -1
	s_barrier_wait -1
	global_inv scope:SCOPE_SE
	ds_load_2addr_b64 v[56:59], v110 offset1:154
	ds_load_2addr_b64 v[48:51], v67 offset0:8 offset1:239
	ds_load_2addr_b64 v[64:67], v124 offset0:41 offset1:195
	;; [unrolled: 1-line block ×4, first 2 shown]
	s_and_saveexec_b32 s1, vcc_lo
	s_cbranch_execz .LBB0_11
; %bb.10:
	ds_load_b64 v[105:106], v110 offset:6160
	ds_load_b64 v[44:45], v110 offset:12936
.LBB0_11:
	s_wait_alu 0xfffe
	s_or_b32 exec_lo, exec_lo, s1
	s_wait_dscnt 0x2
	v_dual_mul_f32 v107, v102, v51 :: v_dual_mul_f32 v108, v100, v65
	v_mul_f32_e32 v102, v102, v50
	v_mul_f32_e32 v100, v100, v64
	global_wb scope:SCOPE_SE
	s_wait_dscnt 0x0
	v_dual_fmac_f32 v107, v101, v50 :: v_dual_fmac_f32 v108, v99, v64
	v_fma_f32 v51, v101, v51, -v102
	v_mul_f32_e32 v101, v98, v67
	v_mul_f32_e32 v50, v98, v66
	v_mul_f32_e32 v64, v96, v61
	v_fma_f32 v65, v99, v65, -v100
	v_sub_f32_e32 v51, v57, v51
	v_fmac_f32_e32 v101, v97, v66
	v_fma_f32 v66, v97, v67, -v50
	v_dual_mul_f32 v50, v96, v60 :: v_dual_mul_f32 v67, v94, v63
	v_fmac_f32_e32 v64, v95, v60
	v_mul_f32_e32 v60, v94, v62
	v_mul_f32_e32 v94, v92, v45
	s_delay_alu instid0(VALU_DEP_4) | instskip(SKIP_4) | instid1(VALU_DEP_4)
	v_fma_f32 v95, v95, v61, -v50
	v_mul_f32_e32 v61, v92, v44
	v_dual_fmac_f32 v67, v93, v62 :: v_dual_sub_f32 v62, v52, v101
	v_sub_f32_e32 v64, v54, v64
	v_fma_f32 v57, v57, 2.0, -v51
	v_fma_f32 v45, v91, v45, -v61
	v_sub_f32_e32 v61, v59, v65
	v_fma_f32 v92, v93, v63, -v60
	v_dual_sub_f32 v63, v53, v66 :: v_dual_fmac_f32 v94, v91, v44
	s_delay_alu instid0(VALU_DEP_4) | instskip(SKIP_1) | instid1(VALU_DEP_4)
	v_dual_sub_f32 v45, v106, v45 :: v_dual_sub_f32 v50, v56, v107
	v_dual_sub_f32 v60, v58, v108 :: v_dual_sub_f32 v65, v55, v95
	;; [unrolled: 1-line block ×3, first 2 shown]
	s_delay_alu instid0(VALU_DEP_3) | instskip(SKIP_1) | instid1(VALU_DEP_4)
	v_fma_f32 v56, v56, 2.0, -v50
	v_sub_f32_e32 v44, v105, v94
	v_fma_f32 v58, v58, 2.0, -v60
	v_fma_f32 v59, v59, 2.0, -v61
	;; [unrolled: 1-line block ×8, first 2 shown]
	s_barrier_signal -1
	s_barrier_wait -1
	global_inv scope:SCOPE_SE
	ds_store_2addr_b64 v119, v[56:57], v[50:51] offset1:11
	ds_store_2addr_b64 v118, v[58:59], v[60:61] offset1:11
	;; [unrolled: 1-line block ×5, first 2 shown]
	s_and_saveexec_b32 s1, vcc_lo
	s_cbranch_execz .LBB0_13
; %bb.12:
	v_mad_u16 v48, v112, 22, v114
	v_fma_f32 v49, v106, 2.0, -v45
	s_delay_alu instid0(VALU_DEP_2) | instskip(SKIP_1) | instid1(VALU_DEP_2)
	v_and_b32_e32 v50, 0xffff, v48
	v_fma_f32 v48, v105, 2.0, -v44
	v_lshlrev_b32_e32 v50, 3, v50
	ds_store_2addr_b64 v50, v[48:49], v[44:45] offset1:11
.LBB0_13:
	s_wait_alu 0xfffe
	s_or_b32 exec_lo, exec_lo, s1
	global_wb scope:SCOPE_SE
	s_wait_dscnt 0x0
	s_barrier_signal -1
	s_barrier_wait -1
	global_inv scope:SCOPE_SE
	ds_load_2addr_b64 v[48:51], v110 offset1:154
	v_add_nc_u32_e32 v52, 0x800, v110
	s_wait_dscnt 0x0
	v_dual_mul_f32 v93, v17, v51 :: v_dual_add_nc_u32 v56, 0x1200, v110
	ds_load_2addr_b64 v[52:55], v52 offset0:52 offset1:206
	ds_load_2addr_b64 v[56:59], v56 offset0:40 offset1:194
	v_add_nc_u32_e32 v60, 0x1c00, v110
	v_mul_f32_e32 v17, v17, v50
	v_add_nc_u32_e32 v64, 0x2400, v110
	v_fmac_f32_e32 v93, v16, v50
	s_delay_alu instid0(VALU_DEP_3)
	v_fma_f32 v16, v16, v51, -v17
	s_wait_dscnt 0x1
	v_dual_mul_f32 v50, v13, v55 :: v_dual_mul_f32 v17, v19, v53
	v_mul_f32_e32 v19, v19, v52
	ds_load_2addr_b64 v[60:63], v60 offset0:28 offset1:182
	v_mul_f32_e32 v13, v13, v54
	s_wait_dscnt 0x1
	v_mul_f32_e32 v51, v15, v57
	v_dual_mul_f32 v15, v15, v56 :: v_dual_mul_f32 v94, v5, v59
	v_dual_fmac_f32 v17, v18, v52 :: v_dual_fmac_f32 v50, v12, v54
	v_fma_f32 v12, v12, v55, -v13
	s_delay_alu instid0(VALU_DEP_3) | instskip(NEXT) | instid1(VALU_DEP_4)
	v_dual_fmac_f32 v51, v14, v56 :: v_dual_fmac_f32 v94, v4, v58
	v_fma_f32 v13, v14, v57, -v15
	v_mul_f32_e32 v5, v5, v58
	v_add_f32_e32 v15, v48, v93
	ds_load_b64 v[91:92], v110 offset:12320
	ds_load_2addr_b64 v[64:67], v64 offset0:80 offset1:234
	v_fma_f32 v18, v18, v53, -v19
	global_wb scope:SCOPE_SE
	s_wait_dscnt 0x0
	v_fma_f32 v4, v4, v59, -v5
	s_barrier_signal -1
	s_barrier_wait -1
	global_inv scope:SCOPE_SE
	v_mul_f32_e32 v14, v7, v61
	s_delay_alu instid0(VALU_DEP_1) | instskip(SKIP_2) | instid1(VALU_DEP_2)
	v_fmac_f32_e32 v14, v6, v60
	v_mul_f32_e32 v5, v7, v60
	v_add_f32_e32 v7, v15, v17
	v_fma_f32 v5, v6, v61, -v5
	s_delay_alu instid0(VALU_DEP_2) | instskip(NEXT) | instid1(VALU_DEP_1)
	v_add_f32_e32 v6, v7, v50
	v_dual_add_f32 v6, v6, v51 :: v_dual_add_f32 v19, v49, v16
	s_delay_alu instid0(VALU_DEP_1) | instskip(NEXT) | instid1(VALU_DEP_2)
	v_add_f32_e32 v6, v6, v94
	v_add_f32_e32 v15, v19, v18
	v_mul_f32_e32 v19, v1, v63
	v_mul_f32_e32 v1, v1, v62
	s_delay_alu instid0(VALU_DEP_4) | instskip(NEXT) | instid1(VALU_DEP_3)
	v_add_f32_e32 v6, v6, v14
	v_fmac_f32_e32 v19, v0, v62
	s_delay_alu instid0(VALU_DEP_3) | instskip(SKIP_2) | instid1(VALU_DEP_2)
	v_fma_f32 v0, v0, v63, -v1
	v_mul_f32_e32 v1, v3, v65
	v_mul_f32_e32 v3, v3, v64
	v_fmac_f32_e32 v1, v2, v64
	s_delay_alu instid0(VALU_DEP_2) | instskip(SKIP_1) | instid1(VALU_DEP_1)
	v_fma_f32 v2, v2, v65, -v3
	v_mul_f32_e32 v3, v11, v91
	v_fma_f32 v3, v10, v92, -v3
	s_delay_alu instid0(VALU_DEP_1) | instskip(SKIP_1) | instid1(VALU_DEP_2)
	v_sub_f32_e32 v52, v16, v3
	v_add_f32_e32 v16, v16, v3
	v_mul_f32_e32 v54, 0xbf0a6770, v52
	s_delay_alu instid0(VALU_DEP_2) | instskip(SKIP_3) | instid1(VALU_DEP_3)
	v_mul_f32_e32 v60, 0xbe11bafb, v16
	v_dual_mul_f32 v11, v11, v92 :: v_dual_add_f32 v6, v6, v19
	v_mul_f32_e32 v56, 0x3f575c64, v16
	v_mul_f32_e32 v64, 0xbf27a4f4, v16
	v_dual_mul_f32 v58, 0xbf7d64f0, v52 :: v_dual_fmac_f32 v11, v10, v91
	s_delay_alu instid0(VALU_DEP_4) | instskip(NEXT) | instid1(VALU_DEP_2)
	v_dual_add_f32 v6, v6, v1 :: v_dual_add_f32 v7, v15, v12
	v_sub_f32_e32 v55, v93, v11
	v_mul_f32_e32 v15, v9, v67
	v_mul_f32_e32 v9, v9, v66
	s_delay_alu instid0(VALU_DEP_3) | instskip(NEXT) | instid1(VALU_DEP_3)
	v_dual_add_f32 v53, v93, v11 :: v_dual_fmamk_f32 v62, v55, 0x3f7d64f0, v60
	v_fmac_f32_e32 v15, v8, v66
	s_delay_alu instid0(VALU_DEP_3) | instskip(NEXT) | instid1(VALU_DEP_3)
	v_fma_f32 v10, v8, v67, -v9
	v_fmamk_f32 v61, v53, 0xbe11bafb, v58
	v_fma_f32 v58, 0xbe11bafb, v53, -v58
	v_fmac_f32_e32 v60, 0xbf7d64f0, v55
	v_dual_add_f32 v6, v6, v15 :: v_dual_add_f32 v7, v7, v13
	v_add_f32_e32 v62, v49, v62
	s_delay_alu instid0(VALU_DEP_4) | instskip(NEXT) | instid1(VALU_DEP_3)
	v_dual_add_f32 v58, v48, v58 :: v_dual_fmamk_f32 v57, v53, 0x3f575c64, v54
	v_dual_add_f32 v8, v6, v11 :: v_dual_add_f32 v7, v7, v4
	v_dual_add_f32 v60, v49, v60 :: v_dual_sub_f32 v91, v18, v10
	v_fma_f32 v11, 0x3f575c64, v53, -v54
	s_delay_alu instid0(VALU_DEP_3) | instskip(NEXT) | instid1(VALU_DEP_1)
	v_add_f32_e32 v7, v7, v5
	v_add_f32_e32 v7, v7, v0
	s_delay_alu instid0(VALU_DEP_1) | instskip(NEXT) | instid1(VALU_DEP_1)
	v_add_f32_e32 v7, v7, v2
	v_add_f32_e32 v7, v7, v10
	s_delay_alu instid0(VALU_DEP_1)
	v_dual_add_f32 v10, v18, v10 :: v_dual_add_f32 v9, v7, v3
	v_add_f32_e32 v7, v48, v57
	v_mul_f32_e32 v57, 0x3ed4b147, v16
	v_mul_f32_e32 v16, 0xbf75a155, v16
	v_fmamk_f32 v6, v55, 0x3f0a6770, v56
	v_dual_fmac_f32 v56, 0xbf0a6770, v55 :: v_dual_add_f32 v61, v48, v61
	v_fmamk_f32 v66, v55, 0x3f4178ce, v64
	v_fmac_f32_e32 v64, 0xbf4178ce, v55
	s_delay_alu instid0(VALU_DEP_4) | instskip(NEXT) | instid1(VALU_DEP_4)
	v_add_f32_e32 v6, v49, v6
	v_add_f32_e32 v56, v49, v56
	v_dual_mul_f32 v3, 0xbf68dda4, v52 :: v_dual_add_f32 v18, v17, v15
	v_sub_f32_e32 v15, v17, v15
	v_mul_f32_e32 v63, 0xbf4178ce, v52
	v_mul_f32_e32 v52, 0xbe903f40, v52
	s_delay_alu instid0(VALU_DEP_4)
	v_fmamk_f32 v54, v53, 0x3ed4b147, v3
	v_fma_f32 v3, 0x3ed4b147, v53, -v3
	v_dual_add_f32 v11, v48, v11 :: v_dual_add_f32 v64, v49, v64
	v_fmamk_f32 v65, v53, 0xbf27a4f4, v63
	v_fma_f32 v63, 0xbf27a4f4, v53, -v63
	v_fmamk_f32 v67, v53, 0xbf75a155, v52
	v_fma_f32 v52, 0xbf75a155, v53, -v52
	v_dual_fmamk_f32 v59, v55, 0x3f68dda4, v57 :: v_dual_add_f32 v54, v48, v54
	v_add_f32_e32 v3, v48, v3
	v_add_f32_e32 v65, v48, v65
	;; [unrolled: 1-line block ×3, first 2 shown]
	v_dual_add_f32 v67, v48, v67 :: v_dual_fmamk_f32 v92, v55, 0x3e903f40, v16
	v_mul_f32_e32 v53, 0xbf68dda4, v91
	v_fmac_f32_e32 v16, 0xbe903f40, v55
	v_dual_fmac_f32 v57, 0xbf68dda4, v55 :: v_dual_add_f32 v48, v48, v52
	v_add_f32_e32 v59, v49, v59
	v_mul_f32_e32 v17, 0x3ed4b147, v10
	v_add_f32_e32 v66, v49, v66
	v_dual_add_f32 v55, v49, v92 :: v_dual_fmamk_f32 v92, v18, 0x3ed4b147, v53
	v_add_f32_e32 v16, v49, v16
	v_dual_add_f32 v57, v49, v57 :: v_dual_mul_f32 v52, 0xbf4178ce, v91
	v_fmamk_f32 v49, v15, 0x3f68dda4, v17
	s_delay_alu instid0(VALU_DEP_4) | instskip(SKIP_2) | instid1(VALU_DEP_4)
	v_dual_add_f32 v7, v92, v7 :: v_dual_mul_f32 v92, 0xbf27a4f4, v10
	v_mul_f32_e32 v93, 0xbf75a155, v10
	v_fma_f32 v53, 0x3ed4b147, v18, -v53
	v_dual_add_f32 v6, v49, v6 :: v_dual_fmamk_f32 v49, v18, 0xbf27a4f4, v52
	v_fma_f32 v52, 0xbf27a4f4, v18, -v52
	s_delay_alu instid0(VALU_DEP_3) | instskip(NEXT) | instid1(VALU_DEP_3)
	v_add_f32_e32 v11, v53, v11
	v_dual_add_f32 v49, v49, v54 :: v_dual_fmamk_f32 v54, v15, 0x3f4178ce, v92
	v_fmac_f32_e32 v92, 0xbf4178ce, v15
	s_delay_alu instid0(VALU_DEP_4) | instskip(NEXT) | instid1(VALU_DEP_3)
	v_add_f32_e32 v3, v52, v3
	v_add_f32_e32 v54, v54, v59
	s_delay_alu instid0(VALU_DEP_3) | instskip(SKIP_3) | instid1(VALU_DEP_3)
	v_dual_add_f32 v52, v92, v57 :: v_dual_fmamk_f32 v57, v15, 0xbe903f40, v93
	v_mul_f32_e32 v59, 0x3f7d64f0, v91
	v_mul_f32_e32 v53, 0x3e903f40, v91
	;; [unrolled: 1-line block ×3, first 2 shown]
	v_dual_add_f32 v57, v57, v62 :: v_dual_fmamk_f32 v62, v18, 0xbe11bafb, v59
	v_fma_f32 v59, 0xbe11bafb, v18, -v59
	s_delay_alu instid0(VALU_DEP_2) | instskip(NEXT) | instid1(VALU_DEP_2)
	v_dual_add_f32 v62, v62, v65 :: v_dual_fmac_f32 v17, 0xbf68dda4, v15
	v_add_f32_e32 v59, v59, v63
	v_sub_f32_e32 v63, v12, v2
	v_add_f32_e32 v2, v12, v2
	v_fma_f32 v12, 0x3f575c64, v18, -v91
	v_add_f32_e32 v17, v17, v56
	s_delay_alu instid0(VALU_DEP_2) | instskip(SKIP_3) | instid1(VALU_DEP_3)
	v_dual_fmamk_f32 v65, v18, 0x3f575c64, v91 :: v_dual_add_f32 v12, v12, v48
	v_fmamk_f32 v56, v18, 0xbf75a155, v53
	v_fma_f32 v53, 0xbf75a155, v18, -v53
	v_mul_f32_e32 v18, 0xbe11bafb, v2
	v_dual_add_f32 v56, v56, v61 :: v_dual_mul_f32 v61, 0xbe11bafb, v10
	s_delay_alu instid0(VALU_DEP_3) | instskip(SKIP_1) | instid1(VALU_DEP_3)
	v_add_f32_e32 v53, v53, v58
	v_mul_f32_e32 v10, 0x3f575c64, v10
	v_fmamk_f32 v58, v15, 0xbf7d64f0, v61
	s_delay_alu instid0(VALU_DEP_1) | instskip(NEXT) | instid1(VALU_DEP_1)
	v_dual_fmac_f32 v61, 0x3f7d64f0, v15 :: v_dual_add_f32 v58, v58, v66
	v_add_f32_e32 v61, v61, v64
	s_delay_alu instid0(VALU_DEP_4) | instskip(SKIP_2) | instid1(VALU_DEP_3)
	v_dual_add_f32 v64, v65, v67 :: v_dual_fmamk_f32 v65, v15, 0xbf0a6770, v10
	v_dual_add_f32 v66, v50, v1 :: v_dual_mul_f32 v67, 0xbf7d64f0, v63
	v_dual_fmac_f32 v10, 0x3f0a6770, v15 :: v_dual_sub_f32 v1, v50, v1
	v_add_f32_e32 v50, v65, v55
	v_fmac_f32_e32 v93, 0x3e903f40, v15
	s_delay_alu instid0(VALU_DEP_4) | instskip(NEXT) | instid1(VALU_DEP_4)
	v_fmamk_f32 v15, v66, 0xbe11bafb, v67
	v_dual_mul_f32 v55, 0xbf75a155, v2 :: v_dual_add_f32 v10, v10, v16
	v_mul_f32_e32 v16, 0x3e903f40, v63
	v_fma_f32 v48, 0xbe11bafb, v66, -v67
	s_delay_alu instid0(VALU_DEP_4) | instskip(SKIP_3) | instid1(VALU_DEP_2)
	v_add_f32_e32 v7, v15, v7
	v_fmamk_f32 v15, v1, 0x3f7d64f0, v18
	v_fmac_f32_e32 v18, 0xbf7d64f0, v1
	v_mul_f32_e32 v65, 0x3f575c64, v2
	v_dual_add_f32 v6, v15, v6 :: v_dual_add_f32 v17, v18, v17
	v_fmamk_f32 v18, v1, 0xbe903f40, v55
	v_fmamk_f32 v15, v66, 0xbf75a155, v16
	v_fma_f32 v16, 0xbf75a155, v66, -v16
	s_delay_alu instid0(VALU_DEP_3) | instskip(SKIP_4) | instid1(VALU_DEP_3)
	v_add_f32_e32 v18, v18, v54
	v_mul_f32_e32 v54, 0x3ed4b147, v2
	v_fmac_f32_e32 v55, 0x3e903f40, v1
	v_dual_add_f32 v11, v48, v11 :: v_dual_mul_f32 v2, 0xbf27a4f4, v2
	v_dual_add_f32 v3, v16, v3 :: v_dual_add_f32 v60, v93, v60
	v_dual_add_f32 v16, v55, v52 :: v_dual_fmamk_f32 v55, v1, 0xbf68dda4, v54
	v_fmac_f32_e32 v54, 0x3f68dda4, v1
	v_mul_f32_e32 v48, 0x3f68dda4, v63
	s_delay_alu instid0(VALU_DEP_3) | instskip(SKIP_2) | instid1(VALU_DEP_4)
	v_dual_mul_f32 v52, 0xbf0a6770, v63 :: v_dual_add_f32 v55, v55, v57
	v_mul_f32_e32 v57, 0xbf4178ce, v63
	v_add_f32_e32 v15, v15, v49
	v_fmamk_f32 v49, v66, 0x3ed4b147, v48
	v_fma_f32 v48, 0x3ed4b147, v66, -v48
	s_delay_alu instid0(VALU_DEP_2) | instskip(NEXT) | instid1(VALU_DEP_2)
	v_dual_add_f32 v49, v49, v56 :: v_dual_fmamk_f32 v56, v66, 0x3f575c64, v52
	v_dual_add_f32 v48, v48, v53 :: v_dual_add_f32 v53, v54, v60
	v_fma_f32 v52, 0x3f575c64, v66, -v52
	v_fmamk_f32 v60, v1, 0x3f4178ce, v2
	s_delay_alu instid0(VALU_DEP_4) | instskip(SKIP_1) | instid1(VALU_DEP_4)
	v_add_f32_e32 v54, v56, v62
	v_fmamk_f32 v56, v1, 0x3f0a6770, v65
	v_dual_fmac_f32 v65, 0xbf0a6770, v1 :: v_dual_add_f32 v52, v52, v59
	v_dual_fmac_f32 v2, 0xbf4178ce, v1 :: v_dual_sub_f32 v1, v51, v19
	s_delay_alu instid0(VALU_DEP_2) | instskip(SKIP_3) | instid1(VALU_DEP_3)
	v_dual_add_f32 v56, v56, v58 :: v_dual_add_f32 v59, v65, v61
	v_dual_sub_f32 v61, v13, v0 :: v_dual_fmamk_f32 v58, v66, 0xbf27a4f4, v57
	v_add_f32_e32 v50, v60, v50
	v_add_f32_e32 v60, v51, v19
	v_dual_add_f32 v0, v13, v0 :: v_dual_mul_f32 v13, 0xbf4178ce, v61
	s_delay_alu instid0(VALU_DEP_4)
	v_add_f32_e32 v58, v58, v64
	v_fma_f32 v57, 0xbf27a4f4, v66, -v57
	v_add_f32_e32 v2, v2, v10
	v_mul_f32_e32 v10, 0x3f7d64f0, v61
	v_fmamk_f32 v51, v60, 0xbf27a4f4, v13
	v_mul_f32_e32 v19, 0xbf27a4f4, v0
	v_add_f32_e32 v12, v57, v12
	v_fma_f32 v13, 0xbf27a4f4, v60, -v13
	s_delay_alu instid0(VALU_DEP_4)
	v_add_f32_e32 v7, v51, v7
	v_fmamk_f32 v51, v60, 0xbe11bafb, v10
	v_fmamk_f32 v57, v1, 0x3f4178ce, v19
	v_fma_f32 v10, 0xbe11bafb, v60, -v10
	v_fmac_f32_e32 v19, 0xbf4178ce, v1
	v_add_f32_e32 v13, v13, v11
	v_add_f32_e32 v15, v51, v15
	v_dual_mul_f32 v51, 0x3f575c64, v0 :: v_dual_add_f32 v6, v57, v6
	v_add_f32_e32 v3, v10, v3
	s_delay_alu instid0(VALU_DEP_2) | instskip(SKIP_1) | instid1(VALU_DEP_1)
	v_dual_add_f32 v17, v19, v17 :: v_dual_fmamk_f32 v10, v1, 0x3f0a6770, v51
	v_mul_f32_e32 v57, 0xbe11bafb, v0
	v_fmamk_f32 v19, v1, 0xbf7d64f0, v57
	s_delay_alu instid0(VALU_DEP_1) | instskip(NEXT) | instid1(VALU_DEP_1)
	v_dual_fmac_f32 v57, 0x3f7d64f0, v1 :: v_dual_add_f32 v18, v19, v18
	v_dual_add_f32 v16, v57, v16 :: v_dual_add_f32 v55, v10, v55
	v_mul_f32_e32 v10, 0xbf75a155, v0
	v_mul_f32_e32 v0, 0x3ed4b147, v0
	v_fmac_f32_e32 v51, 0xbf0a6770, v1
	s_delay_alu instid0(VALU_DEP_1) | instskip(NEXT) | instid1(VALU_DEP_4)
	v_add_f32_e32 v51, v51, v53
	v_fmamk_f32 v53, v1, 0x3e903f40, v10
	v_fmac_f32_e32 v10, 0xbe903f40, v1
	v_mul_f32_e32 v11, 0xbf0a6770, v61
	s_delay_alu instid0(VALU_DEP_1) | instskip(SKIP_1) | instid1(VALU_DEP_2)
	v_fmamk_f32 v62, v60, 0x3f575c64, v11
	v_fma_f32 v11, 0x3f575c64, v60, -v11
	v_add_f32_e32 v19, v62, v49
	s_delay_alu instid0(VALU_DEP_2) | instskip(NEXT) | instid1(VALU_DEP_1)
	v_dual_mul_f32 v49, 0xbe903f40, v61 :: v_dual_add_f32 v48, v11, v48
	v_fmamk_f32 v57, v60, 0xbf75a155, v49
	v_fma_f32 v49, 0xbf75a155, v60, -v49
	s_delay_alu instid0(VALU_DEP_2) | instskip(NEXT) | instid1(VALU_DEP_2)
	v_dual_add_f32 v54, v57, v54 :: v_dual_mul_f32 v11, 0x3f68dda4, v61
	v_dual_add_f32 v49, v49, v52 :: v_dual_add_f32 v52, v10, v59
	v_fmamk_f32 v10, v1, 0xbf68dda4, v0
	v_fmac_f32_e32 v0, 0x3f68dda4, v1
	s_delay_alu instid0(VALU_DEP_4)
	v_fmamk_f32 v57, v60, 0x3ed4b147, v11
	v_sub_f32_e32 v1, v94, v14
	v_add_f32_e32 v53, v53, v56
	v_fma_f32 v11, 0x3ed4b147, v60, -v11
	v_add_f32_e32 v50, v10, v50
	v_add_f32_e32 v56, v57, v58
	v_add_f32_e32 v58, v4, v5
	s_delay_alu instid0(VALU_DEP_4) | instskip(NEXT) | instid1(VALU_DEP_2)
	v_add_f32_e32 v60, v11, v12
	v_dual_mul_f32 v62, 0xbf27a4f4, v58 :: v_dual_sub_f32 v57, v4, v5
	v_mul_f32_e32 v5, 0xbf75a155, v58
	v_add_f32_e32 v59, v94, v14
	v_add_f32_e32 v61, v0, v2
	v_mul_f32_e32 v14, 0x3f575c64, v58
	v_mul_f32_e32 v2, 0x3f0a6770, v57
	v_fmamk_f32 v0, v1, 0x3e903f40, v5
	v_mul_f32_e32 v4, 0xbe903f40, v57
	v_fmac_f32_e32 v5, 0xbe903f40, v1
	s_delay_alu instid0(VALU_DEP_3) | instskip(NEXT) | instid1(VALU_DEP_3)
	v_dual_add_f32 v11, v0, v6 :: v_dual_fmamk_f32 v0, v59, 0x3f575c64, v2
	v_fmamk_f32 v10, v59, 0xbf75a155, v4
	v_fma_f32 v4, 0xbf75a155, v59, -v4
	s_delay_alu instid0(VALU_DEP_3) | instskip(SKIP_1) | instid1(VALU_DEP_4)
	v_add_f32_e32 v12, v0, v15
	v_fmamk_f32 v0, v1, 0xbf0a6770, v14
	v_add_f32_e32 v10, v10, v7
	s_delay_alu instid0(VALU_DEP_4) | instskip(SKIP_1) | instid1(VALU_DEP_4)
	v_add_f32_e32 v6, v4, v13
	v_add_f32_e32 v7, v5, v17
	v_dual_fmac_f32 v14, 0x3f0a6770, v1 :: v_dual_add_f32 v13, v0, v18
	v_fmamk_f32 v0, v1, 0x3f4178ce, v62
	v_mul_f32_e32 v17, 0xbf4178ce, v57
	s_delay_alu instid0(VALU_DEP_3) | instskip(SKIP_2) | instid1(VALU_DEP_1)
	v_dual_mul_f32 v18, 0x3ed4b147, v58 :: v_dual_add_f32 v5, v14, v16
	v_mul_f32_e32 v16, 0x3f68dda4, v57
	v_fma_f32 v2, 0x3f575c64, v59, -v2
	v_dual_fmamk_f32 v15, v59, 0xbf27a4f4, v17 :: v_dual_add_f32 v4, v2, v3
	s_delay_alu instid0(VALU_DEP_1) | instskip(SKIP_4) | instid1(VALU_DEP_4)
	v_add_f32_e32 v14, v15, v19
	v_fma_f32 v2, 0xbf27a4f4, v59, -v17
	v_dual_add_f32 v15, v0, v55 :: v_dual_fmamk_f32 v0, v59, 0x3ed4b147, v16
	v_fmac_f32_e32 v62, 0xbf4178ce, v1
	v_fma_f32 v19, 0x3ed4b147, v59, -v16
	v_add_f32_e32 v2, v2, v48
	v_mul_f32_e32 v48, 0xbf7d64f0, v57
	v_fmamk_f32 v17, v1, 0xbf68dda4, v18
	v_dual_fmac_f32 v18, 0x3f68dda4, v1 :: v_dual_add_f32 v3, v62, v51
	v_mul_f32_e32 v51, 0xbe11bafb, v58
	v_add_f32_e32 v16, v0, v54
	v_add_f32_e32 v0, v19, v49
	v_fmamk_f32 v19, v59, 0xbe11bafb, v48
	v_fma_f32 v48, 0xbe11bafb, v59, -v48
	v_fmamk_f32 v49, v1, 0x3f7d64f0, v51
	v_fmac_f32_e32 v51, 0xbf7d64f0, v1
	v_add_f32_e32 v1, v18, v52
	v_dual_add_f32 v18, v19, v56 :: v_dual_add_f32 v17, v17, v53
	s_delay_alu instid0(VALU_DEP_4) | instskip(NEXT) | instid1(VALU_DEP_4)
	v_add_f32_e32 v19, v49, v50
	v_add_f32_e32 v49, v51, v61
	v_add_nc_u32_e32 v51, 0xf00, v110
	v_add_nc_u32_e32 v50, 0x1e00, v110
	v_add_f32_e32 v48, v48, v60
	ds_store_2addr_b64 v113, v[8:9], v[10:11] offset1:22
	ds_store_2addr_b64 v113, v[12:13], v[14:15] offset0:44 offset1:66
	ds_store_2addr_b64 v113, v[16:17], v[18:19] offset0:88 offset1:110
	;; [unrolled: 1-line block ×4, first 2 shown]
	ds_store_b64 v113, v[6:7] offset:1760
	global_wb scope:SCOPE_SE
	s_wait_dscnt 0x0
	s_barrier_signal -1
	s_barrier_wait -1
	global_inv scope:SCOPE_SE
	ds_load_2addr_b64 v[8:11], v110 offset1:242
	ds_load_2addr_b64 v[16:19], v51 offset0:4 offset1:246
	ds_load_2addr_b64 v[12:15], v50 offset0:8 offset1:250
	ds_load_b64 v[48:49], v110 offset:11616
	s_and_saveexec_b32 s1, s0
	s_cbranch_execz .LBB0_15
; %bb.14:
	v_add_nc_u32_e32 v0, 0x480, v110
	v_add_nc_u32_e32 v4, 0x13c0, v110
	;; [unrolled: 1-line block ×3, first 2 shown]
	ds_load_2addr_b64 v[0:3], v0 offset0:10 offset1:252
	ds_load_2addr_b64 v[4:7], v4 offset0:6 offset1:248
	;; [unrolled: 1-line block ×3, first 2 shown]
	ds_load_b64 v[103:104], v110 offset:12848
.LBB0_15:
	s_wait_alu 0xfffe
	s_or_b32 exec_lo, exec_lo, s1
	s_wait_dscnt 0x2
	v_dual_mul_f32 v52, v41, v11 :: v_dual_mul_f32 v53, v43, v17
	v_mul_f32_e32 v41, v41, v10
	s_delay_alu instid0(VALU_DEP_2) | instskip(NEXT) | instid1(VALU_DEP_2)
	v_dual_mul_f32 v43, v43, v16 :: v_dual_fmac_f32 v52, v40, v10
	v_fma_f32 v10, v40, v11, -v41
	s_wait_dscnt 0x1
	v_dual_mul_f32 v40, v39, v13 :: v_dual_mul_f32 v11, v37, v19
	s_delay_alu instid0(VALU_DEP_1) | instskip(NEXT) | instid1(VALU_DEP_2)
	v_dual_mul_f32 v37, v37, v18 :: v_dual_fmac_f32 v40, v38, v12
	v_dual_fmac_f32 v11, v36, v18 :: v_dual_mul_f32 v12, v39, v12
	s_wait_dscnt 0x0
	v_mul_f32_e32 v18, v35, v49
	s_delay_alu instid0(VALU_DEP_2) | instskip(NEXT) | instid1(VALU_DEP_2)
	v_fma_f32 v12, v38, v13, -v12
	v_fmac_f32_e32 v18, v34, v48
	v_fmac_f32_e32 v53, v42, v16
	v_fma_f32 v16, v42, v17, -v43
	v_fma_f32 v17, v36, v19, -v37
	v_mul_f32_e32 v19, v35, v48
	v_mul_f32_e32 v35, v33, v15
	;; [unrolled: 1-line block ×3, first 2 shown]
	s_delay_alu instid0(VALU_DEP_2)
	v_fmac_f32_e32 v35, v32, v14
	v_add_f32_e32 v14, v52, v18
	v_sub_f32_e32 v18, v52, v18
	v_fma_f32 v19, v34, v49, -v19
	v_fma_f32 v13, v32, v15, -v33
	v_add_f32_e32 v34, v17, v12
	s_delay_alu instid0(VALU_DEP_3) | instskip(SKIP_1) | instid1(VALU_DEP_4)
	v_dual_sub_f32 v12, v12, v17 :: v_dual_add_f32 v15, v10, v19
	v_sub_f32_e32 v10, v10, v19
	v_dual_add_f32 v19, v53, v35 :: v_dual_add_f32 v32, v16, v13
	v_sub_f32_e32 v33, v53, v35
	v_dual_sub_f32 v13, v16, v13 :: v_dual_add_f32 v16, v11, v40
	v_sub_f32_e32 v11, v40, v11
	s_delay_alu instid0(VALU_DEP_4) | instskip(SKIP_1) | instid1(VALU_DEP_4)
	v_add_f32_e32 v17, v19, v14
	v_sub_f32_e32 v36, v19, v14
	v_dual_sub_f32 v14, v14, v16 :: v_dual_add_f32 v35, v32, v15
	s_delay_alu instid0(VALU_DEP_4)
	v_dual_add_f32 v38, v11, v33 :: v_dual_sub_f32 v37, v32, v15
	v_dual_sub_f32 v40, v11, v33 :: v_dual_sub_f32 v19, v16, v19
	v_sub_f32_e32 v32, v34, v32
	v_dual_sub_f32 v11, v18, v11 :: v_dual_add_f32 v16, v16, v17
	v_dual_add_f32 v39, v12, v13 :: v_dual_mul_f32 v14, 0x3f4a47b2, v14
	v_sub_f32_e32 v41, v12, v13
	s_delay_alu instid0(VALU_DEP_3)
	v_dual_sub_f32 v33, v33, v18 :: v_dual_add_f32 v8, v8, v16
	v_add_f32_e32 v17, v34, v35
	v_dual_sub_f32 v15, v15, v34 :: v_dual_sub_f32 v12, v10, v12
	v_add_f32_e32 v18, v38, v18
	v_dual_sub_f32 v13, v13, v10 :: v_dual_mul_f32 v34, 0x3d64c772, v19
	v_add_f32_e32 v10, v39, v10
	v_dual_mul_f32 v38, 0x3f08b237, v40 :: v_dual_add_f32 v9, v9, v17
	v_fmamk_f32 v16, v16, 0xbf955555, v8
	v_fmamk_f32 v19, v19, 0x3d64c772, v14
	v_fma_f32 v14, 0xbf3bfb3b, v36, -v14
	v_mul_f32_e32 v39, 0x3f08b237, v41
	v_mul_f32_e32 v40, 0xbf5ff5aa, v33
	v_fma_f32 v34, 0x3f3bfb3b, v36, -v34
	v_fmamk_f32 v36, v11, 0xbeae86e6, v38
	v_fma_f32 v33, 0xbf5ff5aa, v33, -v38
	v_fma_f32 v38, 0xbf5ff5aa, v13, -v39
	v_mul_f32_e32 v41, 0xbf5ff5aa, v13
	s_delay_alu instid0(VALU_DEP_2) | instskip(SKIP_2) | instid1(VALU_DEP_1)
	v_fmac_f32_e32 v38, 0xbee1c552, v10
	v_fmamk_f32 v17, v17, 0xbf955555, v9
	v_mul_f32_e32 v15, 0x3f4a47b2, v15
	v_dual_mul_f32 v35, 0x3d64c772, v32 :: v_dual_fmamk_f32 v32, v32, 0x3d64c772, v15
	s_delay_alu instid0(VALU_DEP_1) | instskip(NEXT) | instid1(VALU_DEP_2)
	v_fma_f32 v35, 0x3f3bfb3b, v37, -v35
	v_add_f32_e32 v42, v32, v17
	v_fma_f32 v15, 0xbf3bfb3b, v37, -v15
	v_fmamk_f32 v37, v12, 0xbeae86e6, v39
	v_fma_f32 v39, 0x3eae86e6, v11, -v40
	v_fma_f32 v40, 0x3eae86e6, v12, -v41
	v_add_f32_e32 v41, v19, v16
	v_add_f32_e32 v19, v34, v16
	;; [unrolled: 1-line block ×3, first 2 shown]
	v_fmac_f32_e32 v36, 0xbee1c552, v18
	v_fmac_f32_e32 v40, 0xbee1c552, v10
	s_delay_alu instid0(VALU_DEP_4) | instskip(NEXT) | instid1(VALU_DEP_3)
	v_sub_f32_e32 v14, v19, v38
	v_dual_add_f32 v32, v35, v17 :: v_dual_sub_f32 v11, v42, v36
	v_add_f32_e32 v35, v15, v17
	v_dual_fmac_f32 v37, 0xbee1c552, v10 :: v_dual_add_f32 v16, v38, v19
	v_fmac_f32_e32 v33, 0xbee1c552, v18
	v_fmac_f32_e32 v39, 0xbee1c552, v18
	v_add_f32_e32 v12, v40, v34
	s_delay_alu instid0(VALU_DEP_4)
	v_add_f32_e32 v10, v37, v41
	v_sub_f32_e32 v18, v34, v40
	v_add_f32_e32 v15, v33, v32
	v_sub_f32_e32 v17, v32, v33
	v_dual_sub_f32 v32, v41, v37 :: v_dual_sub_f32 v13, v35, v39
	v_add_f32_e32 v19, v39, v35
	v_add_f32_e32 v33, v36, v42
	ds_store_2addr_b64 v110, v[8:9], v[10:11] offset1:242
	ds_store_2addr_b64 v51, v[12:13], v[14:15] offset0:4 offset1:246
	ds_store_2addr_b64 v50, v[16:17], v[18:19] offset0:8 offset1:250
	ds_store_b64 v110, v[32:33] offset:11616
	s_and_saveexec_b32 s1, s0
	s_cbranch_execz .LBB0_17
; %bb.16:
	v_dual_mul_f32 v8, v25, v3 :: v_dual_mul_f32 v9, v23, v45
	v_dual_mul_f32 v10, v21, v7 :: v_dual_mul_f32 v11, v27, v5
	;; [unrolled: 1-line block ×3, first 2 shown]
	s_delay_alu instid0(VALU_DEP_2) | instskip(NEXT) | instid1(VALU_DEP_2)
	v_dual_fmac_f32 v9, v22, v44 :: v_dual_fmac_f32 v10, v20, v6
	v_dual_fmac_f32 v11, v26, v4 :: v_dual_fmac_f32 v12, v28, v46
	s_delay_alu instid0(VALU_DEP_3) | instskip(NEXT) | instid1(VALU_DEP_3)
	v_dual_fmac_f32 v8, v24, v2 :: v_dual_fmac_f32 v13, v30, v103
	v_sub_f32_e32 v14, v9, v10
	v_mul_f32_e32 v16, v31, v103
	s_delay_alu instid0(VALU_DEP_4) | instskip(SKIP_1) | instid1(VALU_DEP_2)
	v_dual_sub_f32 v15, v11, v12 :: v_dual_mul_f32 v2, v25, v2
	v_dual_mul_f32 v25, v29, v46 :: v_dual_mul_f32 v4, v27, v4
	v_dual_sub_f32 v17, v8, v13 :: v_dual_sub_f32 v18, v14, v15
	s_delay_alu instid0(VALU_DEP_4) | instskip(SKIP_1) | instid1(VALU_DEP_4)
	v_fma_f32 v16, v30, v104, -v16
	v_add_f32_e32 v11, v12, v11
	v_fma_f32 v4, v26, v5, -v4
	s_delay_alu instid0(VALU_DEP_4)
	v_sub_f32_e32 v19, v17, v14
	v_add_f32_e32 v5, v14, v15
	v_fma_f32 v2, v24, v3, -v2
	v_dual_mul_f32 v3, v21, v6 :: v_dual_mul_f32 v6, v23, v44
	v_fma_f32 v21, v28, v47, -v25
	v_mul_f32_e32 v18, 0x3f08b237, v18
	s_delay_alu instid0(VALU_DEP_4) | instskip(NEXT) | instid1(VALU_DEP_4)
	v_dual_add_f32 v14, v16, v2 :: v_dual_add_f32 v5, v5, v17
	v_fma_f32 v3, v20, v7, -v3
	v_fma_f32 v6, v22, v45, -v6
	v_dual_add_f32 v7, v21, v4 :: v_dual_sub_f32 v4, v4, v21
	s_delay_alu instid0(VALU_DEP_2) | instskip(NEXT) | instid1(VALU_DEP_2)
	v_dual_sub_f32 v15, v15, v17 :: v_dual_add_f32 v22, v6, v3
	v_add_f32_e32 v23, v7, v14
	v_fmamk_f32 v20, v19, 0xbeae86e6, v18
	v_sub_f32_e32 v6, v6, v3
	s_delay_alu instid0(VALU_DEP_3) | instskip(SKIP_1) | instid1(VALU_DEP_2)
	v_add_f32_e32 v23, v22, v23
	v_sub_f32_e32 v24, v14, v22
	v_dual_fmac_f32 v20, 0xbee1c552, v5 :: v_dual_add_f32 v1, v1, v23
	v_add_f32_e32 v8, v13, v8
	s_delay_alu instid0(VALU_DEP_3) | instskip(SKIP_1) | instid1(VALU_DEP_4)
	v_dual_sub_f32 v12, v22, v7 :: v_dual_mul_f32 v13, 0x3f4a47b2, v24
	v_sub_f32_e32 v7, v7, v14
	v_fmamk_f32 v23, v23, 0xbf955555, v1
	s_delay_alu instid0(VALU_DEP_4) | instskip(NEXT) | instid1(VALU_DEP_4)
	v_dual_add_f32 v9, v9, v10 :: v_dual_add_f32 v10, v11, v8
	v_mul_f32_e32 v22, 0x3d64c772, v12
	v_dual_fmamk_f32 v12, v12, 0x3d64c772, v13 :: v_dual_sub_f32 v3, v6, v4
	s_delay_alu instid0(VALU_DEP_3) | instskip(NEXT) | instid1(VALU_DEP_2)
	v_sub_f32_e32 v24, v8, v9
	v_dual_sub_f32 v8, v11, v8 :: v_dual_mul_f32 v25, 0x3f08b237, v3
	s_delay_alu instid0(VALU_DEP_2) | instskip(SKIP_1) | instid1(VALU_DEP_2)
	v_dual_add_f32 v10, v9, v10 :: v_dual_mul_f32 v21, 0x3f4a47b2, v24
	v_dual_sub_f32 v2, v2, v16 :: v_dual_sub_f32 v9, v9, v11
	v_add_f32_e32 v0, v0, v10
	s_delay_alu instid0(VALU_DEP_2) | instskip(NEXT) | instid1(VALU_DEP_3)
	v_sub_f32_e32 v24, v2, v6
	v_dual_fmamk_f32 v16, v9, 0x3d64c772, v21 :: v_dual_mul_f32 v9, 0x3d64c772, v9
	s_delay_alu instid0(VALU_DEP_2) | instskip(NEXT) | instid1(VALU_DEP_4)
	v_fmamk_f32 v17, v24, 0xbeae86e6, v25
	v_dual_fmamk_f32 v10, v10, 0xbf955555, v0 :: v_dual_sub_f32 v11, v4, v2
	v_add_f32_e32 v4, v6, v4
	v_fma_f32 v6, 0xbf3bfb3b, v7, -v13
	v_fma_f32 v13, 0xbf3bfb3b, v8, -v21
	v_add_f32_e32 v12, v12, v23
	s_delay_alu instid0(VALU_DEP_3) | instskip(NEXT) | instid1(VALU_DEP_3)
	v_add_f32_e32 v21, v6, v23
	v_add_f32_e32 v13, v13, v10
	s_delay_alu instid0(VALU_DEP_3) | instskip(SKIP_4) | instid1(VALU_DEP_3)
	v_add_f32_e32 v3, v20, v12
	v_add_f32_e32 v16, v16, v10
	v_mul_f32_e32 v26, 0xbf5ff5aa, v15
	v_fma_f32 v15, 0xbf5ff5aa, v15, -v18
	v_add_nc_u32_e32 v18, 0x2300, v110
	v_fma_f32 v14, 0x3eae86e6, v19, -v26
	v_mul_f32_e32 v19, 0xbf5ff5aa, v11
	s_delay_alu instid0(VALU_DEP_4) | instskip(SKIP_2) | instid1(VALU_DEP_4)
	v_dual_fmac_f32 v15, 0xbee1c552, v5 :: v_dual_add_f32 v2, v4, v2
	v_fma_f32 v4, 0x3f3bfb3b, v7, -v22
	v_fma_f32 v11, 0xbf5ff5aa, v11, -v25
	;; [unrolled: 1-line block ×3, first 2 shown]
	s_delay_alu instid0(VALU_DEP_1) | instskip(SKIP_2) | instid1(VALU_DEP_1)
	v_fmac_f32_e32 v19, 0xbee1c552, v2
	v_fma_f32 v6, 0x3f3bfb3b, v8, -v9
	v_add_f32_e32 v8, v4, v23
	v_dual_sub_f32 v4, v13, v19 :: v_dual_add_f32 v9, v15, v8
	v_dual_fmac_f32 v14, 0xbee1c552, v5 :: v_dual_fmac_f32 v11, 0xbee1c552, v2
	v_fmac_f32_e32 v17, 0xbee1c552, v2
	v_dual_add_f32 v10, v6, v10 :: v_dual_sub_f32 v7, v8, v15
	s_delay_alu instid0(VALU_DEP_3) | instskip(NEXT) | instid1(VALU_DEP_3)
	v_add_f32_e32 v5, v14, v21
	v_dual_sub_f32 v2, v16, v17 :: v_dual_add_nc_u32 v15, 0x13c0, v110
	s_delay_alu instid0(VALU_DEP_3)
	v_add_f32_e32 v6, v11, v10
	v_dual_sub_f32 v8, v10, v11 :: v_dual_sub_f32 v11, v21, v14
	v_dual_add_f32 v10, v19, v13 :: v_dual_sub_f32 v13, v12, v20
	v_add_f32_e32 v12, v17, v16
	v_add_nc_u32_e32 v14, 0x480, v110
	ds_store_2addr_b64 v14, v[0:1], v[12:13] offset0:10 offset1:252
	ds_store_2addr_b64 v15, v[10:11], v[8:9] offset0:6 offset1:248
	;; [unrolled: 1-line block ×3, first 2 shown]
	ds_store_b64 v110, v[2:3] offset:12848
.LBB0_17:
	s_wait_alu 0xfffe
	s_or_b32 exec_lo, exec_lo, s1
	global_wb scope:SCOPE_SE
	s_wait_dscnt 0x0
	s_barrier_signal -1
	s_barrier_wait -1
	global_inv scope:SCOPE_SE
	ds_load_2addr_b64 v[0:3], v110 offset1:154
	v_add_nc_u32_e32 v4, 0x800, v110
	v_mad_co_u64_u32 v[22:23], null, s4, v109, 0
	s_mov_b32 s0, 0xe9078e5b
	s_mov_b32 s1, 0x3f4357f3
	v_mad_co_u64_u32 v[20:21], null, s6, v68, 0
	s_delay_alu instid0(VALU_DEP_1)
	v_mad_co_u64_u32 v[50:51], null, s7, v68, v[21:22]
	s_wait_dscnt 0x0
	v_mul_f32_e32 v27, v70, v0
	ds_load_2addr_b64 v[4:7], v4 offset0:52 offset1:206
	v_mul_f32_e32 v26, v70, v1
	v_add_nc_u32_e32 v8, 0x1200, v110
	v_add_nc_u32_e32 v12, 0x1c00, v110
	v_fma_f32 v27, v69, v1, -v27
	s_delay_alu instid0(VALU_DEP_4)
	v_dual_mul_f32 v29, v74, v2 :: v_dual_fmac_f32 v26, v69, v0
	v_dual_mov_b32 v0, v23 :: v_dual_mov_b32 v21, v50
	s_wait_dscnt 0x0
	v_dual_mul_f32 v23, v72, v5 :: v_dual_mul_f32 v28, v74, v3
	v_mul_f32_e32 v33, v76, v7
	ds_load_2addr_b64 v[8:11], v8 offset0:40 offset1:194
	ds_load_b64 v[24:25], v110 offset:12320
	ds_load_2addr_b64 v[12:15], v12 offset0:28 offset1:182
	v_dual_fmac_f32 v23, v71, v4 :: v_dual_add_nc_u32 v16, 0x2400, v110
	v_fmac_f32_e32 v28, v73, v2
	v_cvt_f64_f32_e32 v[1:2], v26
	v_cvt_f64_f32_e32 v[26:27], v27
	v_dual_mul_f32 v32, v72, v4 :: v_dual_fmac_f32 v33, v75, v6
	v_fma_f32 v3, v73, v3, -v29
	s_delay_alu instid0(VALU_DEP_2) | instskip(NEXT) | instid1(VALU_DEP_2)
	v_fma_f32 v5, v71, v5, -v32
	v_cvt_f64_f32_e32 v[30:31], v3
	v_cvt_f64_f32_e32 v[3:4], v23
	s_wait_dscnt 0x2
	v_mul_f32_e32 v35, v78, v9
	ds_load_2addr_b64 v[16:19], v16 offset0:80 offset1:234
	s_wait_dscnt 0x1
	v_dual_mul_f32 v34, v76, v6 :: v_dual_mul_f32 v41, v86, v15
	v_mul_f32_e32 v42, v86, v14
	v_cvt_f64_f32_e32 v[28:29], v28
	v_cvt_f64_f32_e32 v[5:6], v5
	v_dual_mul_f32 v37, v80, v11 :: v_dual_mul_f32 v36, v78, v8
	v_dual_mul_f32 v39, v82, v13 :: v_dual_mul_f32 v38, v80, v10
	v_fmac_f32_e32 v35, v77, v8
	v_fma_f32 v32, v75, v7, -v34
	v_fma_f32 v15, v85, v15, -v42
	s_delay_alu instid0(VALU_DEP_4)
	v_fmac_f32_e32 v39, v81, v12
	v_dual_mul_f32 v40, v82, v12 :: v_dual_fmac_f32 v41, v85, v14
	v_fmac_f32_e32 v37, v79, v10
	v_fma_f32 v34, v77, v9, -v36
	v_fma_f32 v36, v79, v11, -v38
	v_cvt_f64_f32_e32 v[7:8], v33
	s_wait_dscnt 0x0
	v_dual_mul_f32 v44, v84, v17 :: v_dual_mul_f32 v47, v90, v24
	v_cvt_f64_f32_e32 v[9:10], v32
	s_wait_alu 0xfffe
	v_mul_f64_e32 v[1:2], s[0:1], v[1:2]
	v_cvt_f64_f32_e32 v[42:43], v15
	v_mul_f32_e32 v15, v84, v16
	v_dual_fmac_f32 v44, v83, v16 :: v_dual_mul_f32 v23, v88, v19
	v_mul_f32_e32 v16, v88, v18
	v_mul_f32_e32 v46, v90, v25
	v_fma_f32 v38, v81, v13, -v40
	v_cvt_f64_f32_e32 v[11:12], v35
	v_fmac_f32_e32 v23, v87, v18
	v_cvt_f64_f32_e32 v[13:14], v34
	v_cvt_f64_f32_e32 v[32:33], v37
	v_cvt_f64_f32_e32 v[34:35], v36
	v_mul_f64_e32 v[26:27], s[0:1], v[26:27]
	v_fma_f32 v15, v83, v17, -v15
	v_fma_f32 v19, v87, v19, -v16
	;; [unrolled: 1-line block ×3, first 2 shown]
	v_cvt_f64_f32_e32 v[36:37], v39
	v_cvt_f64_f32_e32 v[38:39], v38
	;; [unrolled: 1-line block ×7, first 2 shown]
	v_mul_f64_e32 v[28:29], s[0:1], v[28:29]
	v_mul_f64_e32 v[30:31], s[0:1], v[30:31]
	;; [unrolled: 1-line block ×6, first 2 shown]
	v_mad_co_u64_u32 v[51:52], null, s5, v109, v[0:1]
	v_fmac_f32_e32 v46, v89, v24
	v_cvt_f64_f32_e32 v[24:25], v19
	v_lshlrev_b64_e32 v[19:20], 3, v[20:21]
	v_cvt_f32_f64_e32 v0, v[1:2]
	v_mov_b32_e32 v23, v51
	v_cvt_f64_f32_e32 v[46:47], v46
	s_delay_alu instid0(VALU_DEP_4)
	v_add_co_u32 v2, vcc_lo, s2, v19
	v_mul_f64_e32 v[11:12], s[0:1], v[11:12]
	v_cvt_f32_f64_e32 v1, v[26:27]
	v_mul_f64_e32 v[13:14], s[0:1], v[13:14]
	s_wait_alu 0xfffd
	v_add_co_ci_u32_e32 v50, vcc_lo, s3, v20, vcc_lo
	v_lshlrev_b64_e32 v[19:20], 3, v[22:23]
	v_mul_f64_e32 v[21:22], s[0:1], v[32:33]
	v_mul_f64_e32 v[26:27], s[0:1], v[34:35]
	;; [unrolled: 1-line block ×10, first 2 shown]
	v_add_co_u32 v19, vcc_lo, v2, v19
	v_cvt_f32_f64_e32 v28, v[28:29]
	v_cvt_f32_f64_e32 v29, v[30:31]
	;; [unrolled: 1-line block ×4, first 2 shown]
	s_wait_alu 0xfffd
	v_add_co_ci_u32_e32 v20, vcc_lo, v50, v20, vcc_lo
	v_cvt_f32_f64_e32 v6, v[7:8]
	v_cvt_f32_f64_e32 v7, v[9:10]
	v_mul_f64_e32 v[23:24], s[0:1], v[24:25]
	v_mul_f64_e32 v[42:43], s[0:1], v[46:47]
	s_mul_u64 s[0:1], s[4:5], 0x4d0
	s_wait_alu 0xfffe
	v_add_co_u32 v30, vcc_lo, v19, s0
	s_wait_alu 0xfffd
	v_add_co_ci_u32_e32 v31, vcc_lo, s1, v20, vcc_lo
	v_cvt_f32_f64_e32 v8, v[11:12]
	s_delay_alu instid0(VALU_DEP_3) | instskip(SKIP_1) | instid1(VALU_DEP_3)
	v_add_co_u32 v4, vcc_lo, v30, s0
	s_wait_alu 0xfffd
	v_add_co_ci_u32_e32 v5, vcc_lo, s1, v31, vcc_lo
	v_cvt_f32_f64_e32 v9, v[13:14]
	v_cvt_f32_f64_e32 v12, v[21:22]
	;; [unrolled: 1-line block ×3, first 2 shown]
	v_add_co_u32 v10, vcc_lo, v4, s0
	v_cvt_f32_f64_e32 v21, v[32:33]
	v_cvt_f32_f64_e32 v22, v[34:35]
	;; [unrolled: 1-line block ×4, first 2 shown]
	s_wait_alu 0xfffd
	v_add_co_ci_u32_e32 v11, vcc_lo, s1, v5, vcc_lo
	v_cvt_f32_f64_e32 v14, v[40:41]
	v_cvt_f32_f64_e32 v15, v[15:16]
	;; [unrolled: 1-line block ×3, first 2 shown]
	v_add_co_u32 v32, vcc_lo, v10, s0
	s_wait_alu 0xfffd
	v_add_co_ci_u32_e32 v33, vcc_lo, s1, v11, vcc_lo
	global_store_b64 v[19:20], v[0:1], off
	v_add_co_u32 v0, vcc_lo, v32, s0
	v_cvt_f32_f64_e32 v17, v[23:24]
	v_cvt_f32_f64_e32 v24, v[44:45]
	s_wait_alu 0xfffd
	v_add_co_ci_u32_e32 v1, vcc_lo, s1, v33, vcc_lo
	v_add_co_u32 v18, vcc_lo, v0, s0
	v_cvt_f32_f64_e32 v23, v[42:43]
	s_wait_alu 0xfffd
	s_delay_alu instid0(VALU_DEP_3)
	v_add_co_ci_u32_e32 v19, vcc_lo, s1, v1, vcc_lo
	s_clause 0x1
	global_store_b64 v[30:31], v[28:29], off
	global_store_b64 v[4:5], v[2:3], off
	v_add_co_u32 v2, vcc_lo, v18, s0
	s_wait_alu 0xfffd
	v_add_co_ci_u32_e32 v3, vcc_lo, s1, v19, vcc_lo
	global_store_b64 v[10:11], v[6:7], off
	v_add_co_u32 v4, vcc_lo, v2, s0
	s_wait_alu 0xfffd
	v_add_co_ci_u32_e32 v5, vcc_lo, s1, v3, vcc_lo
	;; [unrolled: 4-line block ×4, first 2 shown]
	global_store_b64 v[18:19], v[21:22], off
	global_store_b64 v[2:3], v[25:26], off
	global_store_b64 v[4:5], v[14:15], off
	global_store_b64 v[6:7], v[16:17], off
	global_store_b64 v[0:1], v[23:24], off
.LBB0_18:
	s_nop 0
	s_sendmsg sendmsg(MSG_DEALLOC_VGPRS)
	s_endpgm
	.section	.rodata,"a",@progbits
	.p2align	6, 0x0
	.amdhsa_kernel bluestein_single_fwd_len1694_dim1_sp_op_CI_CI
		.amdhsa_group_segment_fixed_size 13552
		.amdhsa_private_segment_fixed_size 0
		.amdhsa_kernarg_size 104
		.amdhsa_user_sgpr_count 2
		.amdhsa_user_sgpr_dispatch_ptr 0
		.amdhsa_user_sgpr_queue_ptr 0
		.amdhsa_user_sgpr_kernarg_segment_ptr 1
		.amdhsa_user_sgpr_dispatch_id 0
		.amdhsa_user_sgpr_private_segment_size 0
		.amdhsa_wavefront_size32 1
		.amdhsa_uses_dynamic_stack 0
		.amdhsa_enable_private_segment 0
		.amdhsa_system_sgpr_workgroup_id_x 1
		.amdhsa_system_sgpr_workgroup_id_y 0
		.amdhsa_system_sgpr_workgroup_id_z 0
		.amdhsa_system_sgpr_workgroup_info 0
		.amdhsa_system_vgpr_workitem_id 0
		.amdhsa_next_free_vgpr 220
		.amdhsa_next_free_sgpr 20
		.amdhsa_reserve_vcc 1
		.amdhsa_float_round_mode_32 0
		.amdhsa_float_round_mode_16_64 0
		.amdhsa_float_denorm_mode_32 3
		.amdhsa_float_denorm_mode_16_64 3
		.amdhsa_fp16_overflow 0
		.amdhsa_workgroup_processor_mode 1
		.amdhsa_memory_ordered 1
		.amdhsa_forward_progress 0
		.amdhsa_round_robin_scheduling 0
		.amdhsa_exception_fp_ieee_invalid_op 0
		.amdhsa_exception_fp_denorm_src 0
		.amdhsa_exception_fp_ieee_div_zero 0
		.amdhsa_exception_fp_ieee_overflow 0
		.amdhsa_exception_fp_ieee_underflow 0
		.amdhsa_exception_fp_ieee_inexact 0
		.amdhsa_exception_int_div_zero 0
	.end_amdhsa_kernel
	.text
.Lfunc_end0:
	.size	bluestein_single_fwd_len1694_dim1_sp_op_CI_CI, .Lfunc_end0-bluestein_single_fwd_len1694_dim1_sp_op_CI_CI
                                        ; -- End function
	.section	.AMDGPU.csdata,"",@progbits
; Kernel info:
; codeLenInByte = 16624
; NumSgprs: 22
; NumVgprs: 220
; ScratchSize: 0
; MemoryBound: 0
; FloatMode: 240
; IeeeMode: 1
; LDSByteSize: 13552 bytes/workgroup (compile time only)
; SGPRBlocks: 2
; VGPRBlocks: 27
; NumSGPRsForWavesPerEU: 22
; NumVGPRsForWavesPerEU: 220
; Occupancy: 6
; WaveLimiterHint : 1
; COMPUTE_PGM_RSRC2:SCRATCH_EN: 0
; COMPUTE_PGM_RSRC2:USER_SGPR: 2
; COMPUTE_PGM_RSRC2:TRAP_HANDLER: 0
; COMPUTE_PGM_RSRC2:TGID_X_EN: 1
; COMPUTE_PGM_RSRC2:TGID_Y_EN: 0
; COMPUTE_PGM_RSRC2:TGID_Z_EN: 0
; COMPUTE_PGM_RSRC2:TIDIG_COMP_CNT: 0
	.text
	.p2alignl 7, 3214868480
	.fill 96, 4, 3214868480
	.type	__hip_cuid_9dc4fd9be6f18047,@object ; @__hip_cuid_9dc4fd9be6f18047
	.section	.bss,"aw",@nobits
	.globl	__hip_cuid_9dc4fd9be6f18047
__hip_cuid_9dc4fd9be6f18047:
	.byte	0                               ; 0x0
	.size	__hip_cuid_9dc4fd9be6f18047, 1

	.ident	"AMD clang version 19.0.0git (https://github.com/RadeonOpenCompute/llvm-project roc-6.4.0 25133 c7fe45cf4b819c5991fe208aaa96edf142730f1d)"
	.section	".note.GNU-stack","",@progbits
	.addrsig
	.addrsig_sym __hip_cuid_9dc4fd9be6f18047
	.amdgpu_metadata
---
amdhsa.kernels:
  - .args:
      - .actual_access:  read_only
        .address_space:  global
        .offset:         0
        .size:           8
        .value_kind:     global_buffer
      - .actual_access:  read_only
        .address_space:  global
        .offset:         8
        .size:           8
        .value_kind:     global_buffer
      - .actual_access:  read_only
        .address_space:  global
        .offset:         16
        .size:           8
        .value_kind:     global_buffer
      - .actual_access:  read_only
        .address_space:  global
        .offset:         24
        .size:           8
        .value_kind:     global_buffer
      - .actual_access:  read_only
        .address_space:  global
        .offset:         32
        .size:           8
        .value_kind:     global_buffer
      - .offset:         40
        .size:           8
        .value_kind:     by_value
      - .address_space:  global
        .offset:         48
        .size:           8
        .value_kind:     global_buffer
      - .address_space:  global
        .offset:         56
        .size:           8
        .value_kind:     global_buffer
      - .address_space:  global
        .offset:         64
        .size:           8
        .value_kind:     global_buffer
      - .address_space:  global
        .offset:         72
        .size:           8
        .value_kind:     global_buffer
      - .offset:         80
        .size:           4
        .value_kind:     by_value
      - .address_space:  global
        .offset:         88
        .size:           8
        .value_kind:     global_buffer
      - .address_space:  global
        .offset:         96
        .size:           8
        .value_kind:     global_buffer
    .group_segment_fixed_size: 13552
    .kernarg_segment_align: 8
    .kernarg_segment_size: 104
    .language:       OpenCL C
    .language_version:
      - 2
      - 0
    .max_flat_workgroup_size: 154
    .name:           bluestein_single_fwd_len1694_dim1_sp_op_CI_CI
    .private_segment_fixed_size: 0
    .sgpr_count:     22
    .sgpr_spill_count: 0
    .symbol:         bluestein_single_fwd_len1694_dim1_sp_op_CI_CI.kd
    .uniform_work_group_size: 1
    .uses_dynamic_stack: false
    .vgpr_count:     220
    .vgpr_spill_count: 0
    .wavefront_size: 32
    .workgroup_processor_mode: 1
amdhsa.target:   amdgcn-amd-amdhsa--gfx1201
amdhsa.version:
  - 1
  - 2
...

	.end_amdgpu_metadata
